;; amdgpu-corpus repo=ROCm/rocFFT kind=compiled arch=gfx1030 opt=O3
	.text
	.amdgcn_target "amdgcn-amd-amdhsa--gfx1030"
	.amdhsa_code_object_version 6
	.protected	bluestein_single_fwd_len52_dim1_half_op_CI_CI ; -- Begin function bluestein_single_fwd_len52_dim1_half_op_CI_CI
	.globl	bluestein_single_fwd_len52_dim1_half_op_CI_CI
	.p2align	8
	.type	bluestein_single_fwd_len52_dim1_half_op_CI_CI,@function
bluestein_single_fwd_len52_dim1_half_op_CI_CI: ; @bluestein_single_fwd_len52_dim1_half_op_CI_CI
; %bb.0:
	s_load_dwordx4 s[8:11], s[4:5], 0x28
	v_lshrrev_b32_e32 v6, 2, v0
	v_mov_b32_e32 v13, 0
	s_mov_b32 s0, exec_lo
	v_lshl_or_b32 v12, s6, 4, v6
	s_waitcnt lgkmcnt(0)
	v_cmpx_gt_u64_e64 s[8:9], v[12:13]
	s_cbranch_execz .LBB0_10
; %bb.1:
	s_clause 0x1
	s_load_dwordx4 s[0:3], s[4:5], 0x18
	s_load_dwordx4 s[12:15], s[4:5], 0x0
	v_and_b32_e32 v40, 3, v0
	v_mul_u32_u24_e32 v6, 52, v6
	v_mov_b32_e32 v17, 0xbbf1
	v_mov_b32_e32 v18, 0xbb7b
	;; [unrolled: 1-line block ×3, first 2 shown]
	v_lshlrev_b32_e32 v45, 2, v40
	v_mov_b32_e32 v26, 0x33a8
	v_mov_b32_e32 v27, 0x3a95
	v_lshl_or_b32 v39, v6, 2, v45
	s_waitcnt lgkmcnt(0)
	s_load_dwordx4 s[16:19], s[0:1], 0x0
	s_waitcnt lgkmcnt(0)
	v_mad_u64_u32 v[0:1], null, s18, v12, 0
	v_mad_u64_u32 v[2:3], null, s16, v40, 0
	s_lshl_b64 s[0:1], s[16:17], 4
	v_mad_u64_u32 v[4:5], null, s19, v12, v[1:2]
	v_mad_u64_u32 v[7:8], null, s17, v40, v[3:4]
	v_mov_b32_e32 v1, v4
	v_lshlrev_b64 v[0:1], 2, v[0:1]
	v_mov_b32_e32 v3, v7
	v_add_co_u32 v0, vcc_lo, s10, v0
	v_lshlrev_b64 v[2:3], 2, v[2:3]
	v_add_co_ci_u32_e32 v1, vcc_lo, s11, v1, vcc_lo
	v_add_co_u32 v0, vcc_lo, v0, v2
	v_add_co_ci_u32_e32 v1, vcc_lo, v1, v3, vcc_lo
	v_add_co_u32 v2, vcc_lo, v0, s0
	v_add_co_ci_u32_e32 v3, vcc_lo, s1, v1, vcc_lo
	global_load_dword v0, v[0:1], off
	v_add_co_u32 v4, vcc_lo, v2, s0
	v_add_co_ci_u32_e32 v5, vcc_lo, s1, v3, vcc_lo
	s_clause 0x1
	global_load_dword v43, v45, s[12:13]
	global_load_dword v42, v45, s[12:13] offset:16
	s_clause 0x1
	global_load_dword v2, v[2:3], off
	global_load_dword v1, v[4:5], off
	v_add_co_u32 v3, vcc_lo, v4, s0
	v_add_co_ci_u32_e32 v4, vcc_lo, s1, v5, vcc_lo
	s_clause 0x2
	global_load_dword v41, v45, s[12:13] offset:32
	global_load_dword v38, v45, s[12:13] offset:48
	;; [unrolled: 1-line block ×3, first 2 shown]
	v_add_co_u32 v7, vcc_lo, v3, s0
	v_add_co_ci_u32_e32 v8, vcc_lo, s1, v4, vcc_lo
	global_load_dword v3, v[3:4], off
	v_add_co_u32 v9, vcc_lo, v7, s0
	v_add_co_ci_u32_e32 v10, vcc_lo, s1, v8, vcc_lo
	global_load_dword v4, v[7:8], off
	v_add_co_u32 v13, vcc_lo, v9, s0
	v_add_co_ci_u32_e32 v14, vcc_lo, s1, v10, vcc_lo
	s_clause 0x2
	global_load_dword v36, v45, s[12:13] offset:80
	global_load_dword v35, v45, s[12:13] offset:96
	;; [unrolled: 1-line block ×3, first 2 shown]
	global_load_dword v7, v[9:10], off
	global_load_dword v5, v[13:14], off
	v_add_co_u32 v8, vcc_lo, v13, s0
	v_add_co_ci_u32_e32 v9, vcc_lo, s1, v14, vcc_lo
	s_clause 0x1
	global_load_dword v33, v45, s[12:13] offset:128
	global_load_dword v32, v45, s[12:13] offset:144
	v_add_co_u32 v10, vcc_lo, v8, s0
	v_add_co_ci_u32_e32 v11, vcc_lo, s1, v9, vcc_lo
	global_load_dword v9, v[8:9], off
	v_add_co_u32 v13, vcc_lo, v10, s0
	v_add_co_ci_u32_e32 v14, vcc_lo, s1, v11, vcc_lo
	global_load_dword v8, v[10:11], off
	;; [unrolled: 3-line block ×4, first 2 shown]
	v_add_co_u32 v15, vcc_lo, v13, s0
	v_add_co_ci_u32_e32 v16, vcc_lo, s1, v14, vcc_lo
	global_load_dword v31, v45, s[12:13] offset:160
	global_load_dword v13, v[13:14], off
	global_load_dword v14, v[15:16], off
	s_clause 0x1
	global_load_dword v30, v45, s[12:13] offset:176
	global_load_dword v29, v45, s[12:13] offset:192
	v_or_b32_e32 v16, v6, v40
	s_load_dwordx4 s[8:11], s[2:3], 0x0
	v_mov_b32_e32 v15, 0xb770
	s_load_dwordx2 s[2:3], s[4:5], 0x38
	v_cmp_eq_u32_e32 vcc_lo, 0, v40
	v_lshlrev_b32_e32 v44, 2, v16
	s_waitcnt vmcnt(25)
	v_lshrrev_b32_e32 v19, 16, v0
	s_waitcnt vmcnt(24)
	v_mul_f16_sdwa v16, v43, v0 dst_sel:DWORD dst_unused:UNUSED_PAD src0_sel:WORD_1 src1_sel:DWORD
	s_waitcnt vmcnt(22)
	v_lshrrev_b32_e32 v22, 16, v2
	v_mul_f16_sdwa v21, v43, v19 dst_sel:DWORD dst_unused:UNUSED_PAD src0_sel:WORD_1 src1_sel:DWORD
	s_waitcnt vmcnt(21)
	v_lshrrev_b32_e32 v23, 16, v1
	v_fma_f16 v16, v43, v19, -v16
	v_mul_f16_sdwa v19, v42, v2 dst_sel:DWORD dst_unused:UNUSED_PAD src0_sel:WORD_1 src1_sel:DWORD
	s_waitcnt vmcnt(20)
	v_mul_f16_sdwa v24, v41, v1 dst_sel:DWORD dst_unused:UNUSED_PAD src0_sel:WORD_1 src1_sel:DWORD
	v_fmac_f16_e32 v21, v43, v0
	v_mul_f16_sdwa v0, v42, v22 dst_sel:DWORD dst_unused:UNUSED_PAD src0_sel:WORD_1 src1_sel:DWORD
	v_fma_f16 v19, v42, v22, -v19
	v_pack_b32_f16 v16, v21, v16
	v_fmac_f16_e32 v0, v42, v2
	v_mul_f16_sdwa v2, v41, v23 dst_sel:DWORD dst_unused:UNUSED_PAD src0_sel:WORD_1 src1_sel:DWORD
	s_waitcnt vmcnt(17)
	v_lshrrev_b32_e32 v22, 16, v3
	v_fma_f16 v21, v41, v23, -v24
	v_mul_f16_sdwa v23, v38, v3 dst_sel:DWORD dst_unused:UNUSED_PAD src0_sel:WORD_1 src1_sel:DWORD
	ds_write_b32 v44, v16
	v_pack_b32_f16 v0, v0, v19
	v_fmac_f16_e32 v2, v41, v1
	v_mul_f16_sdwa v1, v38, v22 dst_sel:DWORD dst_unused:UNUSED_PAD src0_sel:WORD_1 src1_sel:DWORD
	s_waitcnt vmcnt(16)
	v_lshrrev_b32_e32 v16, 16, v4
	v_mul_f16_sdwa v19, v37, v4 dst_sel:DWORD dst_unused:UNUSED_PAD src0_sel:WORD_1 src1_sel:DWORD
	v_fma_f16 v22, v38, v22, -v23
	v_pack_b32_f16 v2, v2, v21
	v_fmac_f16_e32 v1, v38, v3
	v_mul_f16_sdwa v3, v37, v16 dst_sel:DWORD dst_unused:UNUSED_PAD src0_sel:WORD_1 src1_sel:DWORD
	v_fma_f16 v16, v37, v16, -v19
	s_waitcnt vmcnt(12)
	v_lshrrev_b32_e32 v19, 16, v7
	v_mul_f16_sdwa v21, v36, v7 dst_sel:DWORD dst_unused:UNUSED_PAD src0_sel:WORD_1 src1_sel:DWORD
	ds_write2_b32 v39, v0, v2 offset0:4 offset1:8
	v_pack_b32_f16 v0, v1, v22
	v_fmac_f16_e32 v3, v37, v4
	v_mul_f16_sdwa v1, v36, v19 dst_sel:DWORD dst_unused:UNUSED_PAD src0_sel:WORD_1 src1_sel:DWORD
	s_waitcnt vmcnt(11)
	v_lshrrev_b32_e32 v2, 16, v5
	v_fma_f16 v4, v36, v19, -v21
	v_mul_f16_sdwa v19, v35, v5 dst_sel:DWORD dst_unused:UNUSED_PAD src0_sel:WORD_1 src1_sel:DWORD
	v_pack_b32_f16 v3, v3, v16
	v_fmac_f16_e32 v1, v36, v7
	v_mul_f16_sdwa v7, v35, v2 dst_sel:DWORD dst_unused:UNUSED_PAD src0_sel:WORD_1 src1_sel:DWORD
	s_waitcnt vmcnt(8)
	v_lshrrev_b32_e32 v16, 16, v9
	v_mul_f16_sdwa v21, v34, v9 dst_sel:DWORD dst_unused:UNUSED_PAD src0_sel:WORD_1 src1_sel:DWORD
	v_fma_f16 v2, v35, v2, -v19
	v_pack_b32_f16 v1, v1, v4
	v_fmac_f16_e32 v7, v35, v5
	v_mul_f16_sdwa v4, v34, v16 dst_sel:DWORD dst_unused:UNUSED_PAD src0_sel:WORD_1 src1_sel:DWORD
	v_fma_f16 v5, v34, v16, -v21
	s_waitcnt vmcnt(7)
	v_lshrrev_b32_e32 v16, 16, v8
	v_mul_f16_sdwa v19, v33, v8 dst_sel:DWORD dst_unused:UNUSED_PAD src0_sel:WORD_1 src1_sel:DWORD
	v_pack_b32_f16 v2, v7, v2
	v_fmac_f16_e32 v4, v34, v9
	s_waitcnt vmcnt(6)
	v_lshrrev_b32_e32 v7, 16, v10
	v_mul_f16_sdwa v9, v33, v16 dst_sel:DWORD dst_unused:UNUSED_PAD src0_sel:WORD_1 src1_sel:DWORD
	v_fma_f16 v16, v33, v16, -v19
	v_mul_f16_sdwa v19, v32, v10 dst_sel:DWORD dst_unused:UNUSED_PAD src0_sel:WORD_1 src1_sel:DWORD
	v_pack_b32_f16 v4, v4, v5
	v_mul_f16_sdwa v5, v32, v7 dst_sel:DWORD dst_unused:UNUSED_PAD src0_sel:WORD_1 src1_sel:DWORD
	v_fmac_f16_e32 v9, v33, v8
	s_waitcnt vmcnt(5)
	v_lshrrev_b32_e32 v8, 16, v11
	v_fma_f16 v7, v32, v7, -v19
	s_waitcnt vmcnt(4)
	v_mul_f16_sdwa v19, v31, v11 dst_sel:DWORD dst_unused:UNUSED_PAD src0_sel:WORD_1 src1_sel:DWORD
	v_fmac_f16_e32 v5, v32, v10
	s_waitcnt vmcnt(3)
	v_lshrrev_b32_e32 v10, 16, v13
	s_waitcnt vmcnt(2)
	v_lshrrev_b32_e32 v22, 16, v14
	v_mul_f16_sdwa v21, v31, v8 dst_sel:DWORD dst_unused:UNUSED_PAD src0_sel:WORD_1 src1_sel:DWORD
	v_fma_f16 v8, v31, v8, -v19
	s_waitcnt vmcnt(1)
	v_mul_f16_sdwa v19, v30, v13 dst_sel:DWORD dst_unused:UNUSED_PAD src0_sel:WORD_1 src1_sel:DWORD
	v_mul_f16_sdwa v23, v30, v10 dst_sel:DWORD dst_unused:UNUSED_PAD src0_sel:WORD_1 src1_sel:DWORD
	s_waitcnt vmcnt(0)
	v_mul_f16_sdwa v24, v29, v14 dst_sel:DWORD dst_unused:UNUSED_PAD src0_sel:WORD_1 src1_sel:DWORD
	v_mul_f16_sdwa v25, v29, v22 dst_sel:DWORD dst_unused:UNUSED_PAD src0_sel:WORD_1 src1_sel:DWORD
	v_fmac_f16_e32 v21, v31, v11
	v_fma_f16 v10, v30, v10, -v19
	v_fmac_f16_e32 v23, v30, v13
	v_fma_f16 v11, v29, v22, -v24
	v_fmac_f16_e32 v25, v29, v14
	v_pack_b32_f16 v9, v9, v16
	v_pack_b32_f16 v5, v5, v7
	;; [unrolled: 1-line block ×5, first 2 shown]
	ds_write2_b32 v39, v0, v3 offset0:12 offset1:16
	ds_write2_b32 v39, v1, v2 offset0:20 offset1:24
	;; [unrolled: 1-line block ×5, first 2 shown]
	s_waitcnt lgkmcnt(0)
	s_barrier
	buffer_gl0_inv
	ds_read2_b32 v[8:9], v39 offset0:4 offset1:8
	ds_read_b32 v7, v44
	ds_read2_b32 v[0:1], v39 offset0:44 offset1:48
	ds_read2_b32 v[10:11], v39 offset0:12 offset1:16
	ds_read2_b32 v[2:3], v39 offset0:36 offset1:40
	ds_read2_b32 v[13:14], v39 offset0:20 offset1:24
	ds_read2_b32 v[4:5], v39 offset0:28 offset1:32
	v_mul_u32_u24_e32 v24, 13, v40
	v_mov_b32_e32 v16, 0x394e
	v_mov_b32_e32 v19, 0x3bf1
	;; [unrolled: 1-line block ×4, first 2 shown]
	v_add_lshl_u32 v46, v6, v24, 2
	v_mov_b32_e32 v23, 0x3b7b
	v_mov_b32_e32 v25, 0x3770
	s_waitcnt lgkmcnt(0)
	s_barrier
	buffer_gl0_inv
	v_pk_add_f16 v24, v7, v8
	v_pk_add_f16 v47, v0, v9
	v_pk_add_f16 v48, v9, v0 neg_lo:[0,1] neg_hi:[0,1]
	v_pk_add_f16 v28, v1, v8
	v_pk_add_f16 v8, v8, v1 neg_lo:[0,1] neg_hi:[0,1]
	v_pk_add_f16 v9, v24, v9
	v_pk_add_f16 v49, v3, v10
	v_pk_add_f16 v50, v10, v3 neg_lo:[0,1] neg_hi:[0,1]
	v_pk_add_f16 v51, v2, v11
	v_pk_add_f16 v52, v11, v2 neg_lo:[0,1] neg_hi:[0,1]
	v_pk_add_f16 v53, v5, v13
	v_pk_add_f16 v54, v13, v5 neg_lo:[0,1] neg_hi:[0,1]
	v_pk_add_f16 v9, v9, v10
	v_pk_add_f16 v56, v14, v4 neg_lo:[0,1] neg_hi:[0,1]
	v_lshrrev_b32_e32 v24, 16, v28
	v_mul_f16_e32 v57, 0xba95, v8
	v_mul_f16_e32 v58, 0xbbf1, v8
	v_mul_f16_e32 v59, 0xbb7b, v8
	v_mul_f16_e32 v60, 0xb94e, v8
	v_lshrrev_b32_e32 v61, 16, v47
	v_mul_f16_e32 v62, 0xbb7b, v48
	v_mul_f16_e32 v63, 0xb3a8, v48
	v_mul_f16_e32 v64, 0x394e, v48
	v_mul_f16_e32 v65, 0x3bf1, v48
	;; [unrolled: 5-line block ×5, first 2 shown]
	v_mul_f16_sdwa v15, v8, v15 dst_sel:DWORD dst_unused:UNUSED_PAD src0_sel:WORD_1 src1_sel:DWORD
	v_mul_f16_sdwa v81, v8, v17 dst_sel:DWORD dst_unused:UNUSED_PAD src0_sel:WORD_1 src1_sel:DWORD
	;; [unrolled: 1-line block ×4, first 2 shown]
	v_pk_mul_f16 v84, 0x3b15388b, v28
	v_pk_add_f16 v9, v9, v11
	v_pk_add_f16 v55, v4, v14
	v_pk_mul_f16 v85, 0xbbc4, v28 op_sel_hi:[0,1]
	v_mul_f16_sdwa v16, v48, v16 dst_sel:DWORD dst_unused:UNUSED_PAD src0_sel:WORD_1 src1_sel:DWORD
	v_mul_f16_sdwa v19, v48, v19 dst_sel:DWORD dst_unused:UNUSED_PAD src0_sel:WORD_1 src1_sel:DWORD
	v_mul_f16_sdwa v86, v48, v21 dst_sel:DWORD dst_unused:UNUSED_PAD src0_sel:WORD_1 src1_sel:DWORD
	v_mul_f16_sdwa v87, v48, v22 dst_sel:DWORD dst_unused:UNUSED_PAD src0_sel:WORD_1 src1_sel:DWORD
	v_pk_mul_f16 v88, 0x388bb5ac, v47
	v_pk_mul_f16 v89, 0x3b15, v47 op_sel_hi:[0,1]
	v_mul_f16_sdwa v23, v50, v23 dst_sel:DWORD dst_unused:UNUSED_PAD src0_sel:WORD_1 src1_sel:DWORD
	v_mul_f16_sdwa v90, v50, v17 dst_sel:DWORD dst_unused:UNUSED_PAD src0_sel:WORD_1 src1_sel:DWORD
	v_mul_f16_sdwa v91, v50, v25 dst_sel:DWORD dst_unused:UNUSED_PAD src0_sel:WORD_1 src1_sel:DWORD
	v_mul_f16_sdwa v92, v50, v21 dst_sel:DWORD dst_unused:UNUSED_PAD src0_sel:WORD_1 src1_sel:DWORD
	v_pk_mul_f16 v93, 0x2fb7bbc4, v49
	;; [unrolled: 6-line block ×4, first 2 shown]
	v_pk_mul_f16 v102, 0xb5ac, v53 op_sel_hi:[0,1]
	v_mul_f16_sdwa v22, v56, v22 dst_sel:DWORD dst_unused:UNUSED_PAD src0_sel:WORD_1 src1_sel:DWORD
	v_mul_f16_sdwa v20, v56, v20 dst_sel:DWORD dst_unused:UNUSED_PAD src0_sel:WORD_1 src1_sel:DWORD
	;; [unrolled: 1-line block ×4, first 2 shown]
	v_fmamk_f16 v10, v24, 0x388b, v57
	v_fma_f16 v57, v24, 0x388b, -v57
	v_fmamk_f16 v111, v24, 0x2fb7, v58
	v_fma_f16 v58, v24, 0x2fb7, -v58
	;; [unrolled: 2-line block ×20, first 2 shown]
	v_fma_f16 v80, v28, 0x3b15, -v15
	v_fmac_f16_e32 v15, 0x3b15, v28
	v_fma_f16 v126, v28, 0x2fb7, -v81
	v_fmac_f16_e32 v81, 0x2fb7, v28
	;; [unrolled: 2-line block ×4, first 2 shown]
	v_pk_fma_f16 v28, 0xba95b770, v8, v84 op_sel:[0,0,1] op_sel_hi:[1,1,0] neg_lo:[0,1,0] neg_hi:[0,1,0]
	v_pk_fma_f16 v84, 0xba95b770, v8, v84 op_sel:[0,0,1] op_sel_hi:[1,1,0]
	v_pk_add_f16 v9, v9, v13
	v_pk_mul_f16 v103, 0xbbc43b15, v55
	v_lshrrev_b32_e32 v104, 16, v55
	v_pk_mul_f16 v110, 0x2fb7, v55 op_sel_hi:[0,1]
	v_pk_fma_f16 v129, 0xb3a8, v8, v85 op_sel:[0,0,1] op_sel_hi:[0,1,0] neg_lo:[0,1,0] neg_hi:[0,1,0]
	v_pk_fma_f16 v8, 0xb3a8, v8, v85 op_sel:[0,0,1] op_sel_hi:[0,1,0]
	v_fma_f16 v85, v47, 0x388b, -v86
	v_fmac_f16_e32 v86, 0x388b, v47
	v_fma_f16 v130, v47, 0xbbc4, -v87
	v_fmac_f16_e32 v87, 0xbbc4, v47
	v_fma_f16 v131, v47, 0xb9fd, -v16
	v_fmac_f16_e32 v16, 0xb9fd, v47
	v_fma_f16 v132, v47, 0x2fb7, -v19
	v_fmac_f16_e32 v19, 0x2fb7, v47
	v_pk_fma_f16 v47, 0xbb7bba95, v48, v88 op_sel:[0,0,1] op_sel_hi:[1,1,0] neg_lo:[0,1,0] neg_hi:[0,1,0]
	v_pk_fma_f16 v88, 0xbb7bba95, v48, v88 op_sel:[0,0,1] op_sel_hi:[1,1,0]
	v_pk_fma_f16 v133, 0x3770, v48, v89 op_sel:[0,0,1] op_sel_hi:[0,1,0] neg_lo:[0,1,0] neg_hi:[0,1,0]
	v_pk_fma_f16 v48, 0x3770, v48, v89 op_sel:[0,0,1] op_sel_hi:[0,1,0]
	v_fma_f16 v89, v49, 0x2fb7, -v90
	v_fmac_f16_e32 v90, 0x2fb7, v49
	v_fma_f16 v134, v49, 0xb5ac, -v23
	v_fmac_f16_e32 v23, 0xb5ac, v49
	v_fma_f16 v135, v49, 0x3b15, -v91
	v_fmac_f16_e32 v91, 0x3b15, v49
	v_fma_f16 v136, v49, 0x388b, -v92
	v_fmac_f16_e32 v92, 0x388b, v49
	v_pk_fma_f16 v49, 0xb3a8bbf1, v50, v93 op_sel:[0,0,1] op_sel_hi:[1,1,0] neg_lo:[0,1,0] neg_hi:[0,1,0]
	v_pk_fma_f16 v93, 0xb3a8bbf1, v50, v93 op_sel:[0,0,1] op_sel_hi:[1,1,0]
	;; [unrolled: 12-line block ×4, first 2 shown]
	v_pk_fma_f16 v145, 0xbb7b, v54, v102 op_sel:[0,0,1] op_sel_hi:[0,1,0] neg_lo:[0,1,0] neg_hi:[0,1,0]
	v_pk_fma_f16 v54, 0xbb7b, v54, v102 op_sel:[0,0,1] op_sel_hi:[0,1,0]
	v_fma_f16 v102, v55, 0xbbc4, -v22
	v_fma_f16 v149, v55, 0xb9fd, -v20
	v_fmac_f16_e32 v20, 0xb9fd, v55
	v_fma_f16 v152, v55, 0x388b, -v27
	v_fmac_f16_e32 v27, 0x388b, v55
	v_fmac_f16_e32 v22, 0xbbc4, v55
	v_fma_f16 v153, v55, 0xb5ac, -v18
	v_fmac_f16_e32 v18, 0xb5ac, v55
	v_bfi_b32 v55, 0xffff, v84, v28
	v_add_f16_e32 v11, v7, v80
	v_add_f16_e32 v15, v7, v15
	v_add_f16_sdwa v10, v7, v10 dst_sel:DWORD dst_unused:UNUSED_PAD src0_sel:WORD_1 src1_sel:DWORD
	v_pk_add_f16 v80, v7, v84 op_sel:[1,0] op_sel_hi:[0,1]
	v_add_f16_sdwa v57, v7, v57 dst_sel:DWORD dst_unused:UNUSED_PAD src0_sel:WORD_1 src1_sel:DWORD
	v_add_f16_e32 v84, v7, v126
	v_add_f16_sdwa v111, v7, v111 dst_sel:DWORD dst_unused:UNUSED_PAD src0_sel:WORD_1 src1_sel:DWORD
	v_add_f16_e32 v81, v7, v81
	;; [unrolled: 2-line block ×3, first 2 shown]
	v_add_f16_sdwa v112, v7, v112 dst_sel:DWORD dst_unused:UNUSED_PAD src0_sel:WORD_1 src1_sel:DWORD
	v_pk_add_f16 v9, v9, v14
	v_add_f16_e32 v82, v7, v82
	v_add_f16_sdwa v59, v7, v59 dst_sel:DWORD dst_unused:UNUSED_PAD src0_sel:WORD_1 src1_sel:DWORD
	v_add_f16_e32 v127, v7, v128
	v_add_f16_sdwa v113, v7, v113 dst_sel:DWORD dst_unused:UNUSED_PAD src0_sel:WORD_1 src1_sel:DWORD
	;; [unrolled: 2-line block ×3, first 2 shown]
	v_add_f16_sdwa v28, v7, v28 dst_sel:DWORD dst_unused:UNUSED_PAD src0_sel:WORD_1 src1_sel:DWORD
	v_pk_add_f16 v128, v7, v129 op_sel:[1,0] op_sel_hi:[0,1]
	v_pk_add_f16 v8, v7, v8 op_sel:[1,0] op_sel_hi:[0,1]
	v_bfi_b32 v129, 0xffff, v88, v47
	v_pk_add_f16 v7, v7, v55 op_sel:[1,0] op_sel_hi:[0,1]
	v_add_f16_e32 v11, v85, v11
	v_add_f16_e32 v13, v86, v15
	;; [unrolled: 1-line block ×10, first 2 shown]
	v_pk_add_f16 v4, v9, v4
	v_bfi_b32 v154, 0xffff, v93, v49
	v_pk_add_f16 v7, v129, v7
	v_add_f16_e32 v19, v19, v83
	v_add_f16_e32 v24, v61, v24
	v_pk_add_f16 v61, v88, v80
	v_add_f16_e32 v28, v47, v28
	v_pk_add_f16 v47, v133, v128
	v_pk_add_f16 v8, v48, v8
	v_add_f16_e32 v11, v89, v11
	v_add_f16_e32 v13, v90, v13
	;; [unrolled: 1-line block ×9, first 2 shown]
	v_pk_add_f16 v4, v4, v5
	v_bfi_b32 v155, 0xffff, v98, v51
	v_add_f16_e32 v10, v65, v10
	v_pk_add_f16 v7, v154, v7
	v_mul_f16_e32 v105, 0x3770, v56
	v_mul_f16_e32 v106, 0x3a95, v56
	;; [unrolled: 1-line block ×3, first 2 shown]
	v_add_f16_e32 v19, v92, v19
	v_pk_add_f16 v61, v93, v61
	v_add_f16_e32 v28, v49, v28
	v_pk_add_f16 v47, v137, v47
	v_pk_add_f16 v8, v50, v8
	v_add_f16_e32 v9, v94, v11
	v_add_f16_e32 v11, v95, v13
	;; [unrolled: 1-line block ×8, first 2 shown]
	v_pk_add_f16 v2, v4, v2
	v_add_f16_e32 v16, v16, v82
	v_add_f16_e32 v59, v64, v59
	;; [unrolled: 1-line block ×4, first 2 shown]
	v_pk_fma_f16 v146, 0x3770b3a8, v56, v103 op_sel:[0,0,1] op_sel_hi:[1,1,0] neg_lo:[0,1,0] neg_hi:[0,1,0]
	v_pk_fma_f16 v147, 0x3770b3a8, v56, v103 op_sel:[0,0,1] op_sel_hi:[1,1,0]
	v_bfi_b32 v156, 0xffff, v101, v53
	v_add_f16_e32 v10, v70, v10
	v_pk_add_f16 v5, v155, v7
	v_mul_f16_e32 v109, 0xb94e, v56
	v_fmamk_f16 v148, v104, 0x3b15, v105
	v_fma_f16 v105, v104, 0x3b15, -v105
	v_fmamk_f16 v150, v104, 0x388b, v106
	v_fma_f16 v106, v104, 0x388b, -v106
	;; [unrolled: 2-line block ×3, first 2 shown]
	v_mul_f16_e32 v104, 0xb9fd, v104
	v_add_f16_e32 v19, v97, v19
	v_pk_add_f16 v58, v98, v61
	v_add_f16_e32 v28, v51, v28
	v_pk_add_f16 v47, v141, v47
	v_add_f16_e32 v7, v99, v9
	v_add_f16_e32 v9, v100, v11
	;; [unrolled: 1-line block ×8, first 2 shown]
	v_pk_add_f16 v2, v2, v3
	v_add_f16_e32 v16, v91, v16
	v_add_f16_e32 v60, v136, v64
	;; [unrolled: 1-line block ×3, first 2 shown]
	v_bfi_b32 v147, 0xffff, v147, v146
	v_add_f16_e32 v10, v75, v10
	v_pk_add_f16 v4, v156, v5
	v_add_f16_e32 v59, v69, v59
	v_add_f16_e32 v24, v66, v24
	v_pk_mul_f16 v108, 0x3770b3a8, v56
	v_fmamk_f16 v157, v56, 0xb94e, v104
	v_add_f16_e32 v49, v73, v55
	v_pk_add_f16 v8, v52, v8
	v_add_f16_e32 v19, v25, v19
	v_add_f16_e32 v25, v53, v28
	v_pk_add_f16 v28, v145, v47
	v_bfi_b32 v47, 0xffff, v109, v58
	v_add_f16_e32 v15, v20, v15
	v_add_f16_e32 v20, v152, v21
	;; [unrolled: 1-line block ×3, first 2 shown]
	v_pk_add_f16 v0, v2, v0
	v_add_f16_e32 v16, v17, v16
	v_add_f16_e32 v55, v140, v60
	;; [unrolled: 1-line block ×5, first 2 shown]
	v_pk_add_f16 v4, v147, v4
	v_add_f16_e32 v17, v74, v59
	v_add_f16_e32 v24, v71, v24
	;; [unrolled: 1-line block ×7, first 2 shown]
	v_pack_b32_f16 v19, v20, v21
	v_pk_add_f16 v0, v0, v1
	v_pk_add_f16 v1, v54, v8
	v_pack_b32_f16 v8, v78, v103
	v_bfi_b32 v20, 0xffff, v49, v108
	v_pk_add_f16 v21, v104, v47 neg_lo:[0,1] neg_hi:[0,1]
	v_pk_add_f16 v22, v101, v58
	v_add_f16_e32 v16, v26, v16
	v_add_f16_e32 v26, v144, v55
	;; [unrolled: 1-line block ×3, first 2 shown]
	v_alignbit_b32 v7, v7, v4, 16
	v_pack_b32_f16 v4, v5, v4
	v_pk_fma_f16 v5, 0x3bf1, v56, v110 op_sel:[0,0,1] op_sel_hi:[0,1,0] neg_lo:[0,1,0] neg_hi:[0,1,0]
	v_pk_fma_f16 v23, 0x3bf1, v56, v110 op_sel:[0,0,1] op_sel_hi:[0,1,0]
	v_add_f16_e32 v17, v79, v17
	v_add_f16_e32 v24, v76, v24
	v_pack_b32_f16 v11, v11, v14
	v_pk_add_f16 v8, v8, v20
	v_bfi_b32 v14, 0xffff, v21, v22
	v_add_f16_e32 v3, v153, v26
	v_add_f16_e32 v9, v151, v50
	v_pk_add_f16 v5, v5, v28
	v_pk_add_f16 v1, v23, v1
	v_add_f16_e32 v16, v27, v16
	v_add_f16_e32 v17, v106, v17
	;; [unrolled: 1-line block ×3, first 2 shown]
	ds_write2_b32 v46, v4, v7 offset0:1 offset1:2
	ds_write2_b32 v46, v11, v19 offset0:3 offset1:4
	v_pk_add_f16 v4, v14, v8
	v_add_f16_e32 v48, v146, v25
	v_pack_b32_f16 v3, v3, v9
	v_alignbit_b32 v7, v5, v1, 16
	v_alignbit_b32 v1, v1, v5, 16
	v_pack_b32_f16 v5, v16, v17
	v_pack_b32_f16 v2, v18, v2
	v_alignbit_b32 v8, v10, v4, 16
	v_pack_b32_f16 v4, v15, v4
	v_pack_b32_f16 v9, v13, v48
	ds_write2_b32 v46, v0, v3 offset1:5
	ds_write2_b32 v46, v1, v7 offset0:6 offset1:7
	ds_write2_b32 v46, v2, v5 offset0:8 offset1:9
	;; [unrolled: 1-line block ×3, first 2 shown]
	ds_write_b32 v46, v9 offset:48
	s_waitcnt lgkmcnt(0)
	s_barrier
	buffer_gl0_inv
	ds_read2_b32 v[19:20], v39 offset0:4 offset1:8
	ds_read2_b32 v[23:24], v39 offset0:13 offset1:17
	;; [unrolled: 1-line block ×5, first 2 shown]
	ds_read_b32 v52, v44
	ds_read_b32 v53, v39 offset:188
	v_add_co_u32 v15, s0, s12, v45
	v_add_co_ci_u32_e64 v16, null, s13, 0, s0
	v_lshlrev_b32_e32 v47, 2, v6
                                        ; implicit-def: $vgpr18
                                        ; implicit-def: $vgpr49
                                        ; implicit-def: $vgpr50
                                        ; implicit-def: $vgpr51
	s_and_saveexec_b32 s0, vcc_lo
	s_cbranch_execz .LBB0_3
; %bb.2:
	ds_read2_b32 v[13:14], v47 offset0:12 offset1:25
	ds_read2_b32 v[17:18], v47 offset0:38 offset1:51
	s_waitcnt lgkmcnt(1)
	v_lshrrev_b32_e32 v48, 16, v13
	v_lshrrev_b32_e32 v51, 16, v14
	s_waitcnt lgkmcnt(0)
	v_lshrrev_b32_e32 v50, 16, v17
	v_lshrrev_b32_e32 v49, 16, v18
.LBB0_3:
	s_or_b32 exec_lo, exec_lo, s0
	v_mad_u64_u32 v[0:1], null, v40, 12, s[14:15]
	s_waitcnt lgkmcnt(5)
	v_lshrrev_b32_e32 v55, 16, v23
	s_waitcnt lgkmcnt(4)
	v_lshrrev_b32_e32 v56, 16, v22
	;; [unrolled: 2-line block ×3, first 2 shown]
	v_lshrrev_b32_e32 v63, 16, v21
	s_waitcnt lgkmcnt(2)
	v_lshrrev_b32_e32 v64, 16, v26
	s_waitcnt lgkmcnt(0)
	v_lshrrev_b32_e32 v65, 16, v53
	s_clause 0x2
	global_load_dwordx3 v[9:11], v[0:1], off
	global_load_dwordx3 v[6:8], v[0:1], off offset:48
	global_load_dwordx3 v[3:5], v[0:1], off offset:96
	v_mad_u64_u32 v[0:1], null, v40, 3, -3
	v_lshrrev_b32_e32 v59, 16, v24
	v_lshrrev_b32_e32 v60, 16, v25
	;; [unrolled: 1-line block ×6, first 2 shown]
	v_cndmask_b32_e64 v1, v1, 0, vcc_lo
	v_cndmask_b32_e64 v0, v0, 36, vcc_lo
	v_lshlrev_b64 v[0:1], 2, v[0:1]
	v_add_co_u32 v0, s0, s14, v0
	v_add_co_ci_u32_e64 v1, s0, s15, v1, s0
	global_load_dwordx3 v[0:2], v[0:1], off
	s_waitcnt vmcnt(3)
	v_mul_f16_sdwa v66, v55, v9 dst_sel:DWORD dst_unused:UNUSED_PAD src0_sel:DWORD src1_sel:WORD_1
	v_mul_f16_sdwa v67, v23, v9 dst_sel:DWORD dst_unused:UNUSED_PAD src0_sel:DWORD src1_sel:WORD_1
	;; [unrolled: 1-line block ×6, first 2 shown]
	s_waitcnt vmcnt(1)
	v_mul_f16_sdwa v78, v63, v3 dst_sel:DWORD dst_unused:UNUSED_PAD src0_sel:DWORD src1_sel:WORD_1
	v_mul_f16_sdwa v79, v21, v3 dst_sel:DWORD dst_unused:UNUSED_PAD src0_sel:DWORD src1_sel:WORD_1
	;; [unrolled: 1-line block ×12, first 2 shown]
	v_fma_f16 v23, v23, v9, -v66
	v_fmac_f16_e32 v67, v55, v9
	v_fma_f16 v22, v22, v10, -v68
	v_fmac_f16_e32 v69, v56, v10
	;; [unrolled: 2-line block ×9, first 2 shown]
	v_sub_f16_e32 v22, v52, v22
	v_sub_f16_e32 v55, v54, v69
	;; [unrolled: 1-line block ×12, first 2 shown]
	v_fma_f16 v52, v52, 2.0, -v22
	v_fma_f16 v54, v54, 2.0, -v55
	;; [unrolled: 1-line block ×4, first 2 shown]
	v_sub_f16_e32 v56, v22, v56
	v_add_f16_e32 v27, v55, v27
	v_fma_f16 v21, v21, 2.0, -v53
	v_fma_f16 v65, v79, 2.0, -v61
	v_sub_f16_e32 v61, v26, v61
	v_add_f16_e32 v53, v60, v53
	s_waitcnt vmcnt(0)
	v_mul_f16_sdwa v66, v51, v0 dst_sel:DWORD dst_unused:UNUSED_PAD src0_sel:DWORD src1_sel:WORD_1
	v_mul_f16_sdwa v67, v14, v0 dst_sel:DWORD dst_unused:UNUSED_PAD src0_sel:DWORD src1_sel:WORD_1
	;; [unrolled: 1-line block ×6, first 2 shown]
	v_fma_f16 v24, v24, 2.0, -v28
	v_fma_f16 v64, v73, 2.0, -v59
	v_sub_f16_e32 v59, v25, v59
	v_add_f16_e32 v28, v57, v28
	v_fma_f16 v20, v20, 2.0, -v26
	v_fma_f16 v62, v62, 2.0, -v60
	v_sub_f16_e32 v23, v52, v23
	v_sub_f16_e32 v63, v54, v63
	v_fma_f16 v22, v22, 2.0, -v56
	v_fma_f16 v55, v55, 2.0, -v27
	v_fma_f16 v26, v26, 2.0, -v61
	v_fma_f16 v60, v60, 2.0, -v53
	v_fma_f16 v14, v14, v0, -v66
	v_fmac_f16_e32 v67, v51, v0
	v_fma_f16 v17, v17, v1, -v68
	v_fmac_f16_e32 v69, v50, v1
	;; [unrolled: 2-line block ×3, first 2 shown]
	v_fma_f16 v19, v19, 2.0, -v25
	v_fma_f16 v58, v58, 2.0, -v57
	;; [unrolled: 1-line block ×4, first 2 shown]
	v_pack_b32_f16 v56, v56, v27
	v_pack_b32_f16 v59, v59, v28
	v_fma_f16 v27, v52, 2.0, -v23
	v_fma_f16 v28, v54, 2.0, -v63
	v_pack_b32_f16 v22, v22, v55
	v_pack_b32_f16 v51, v26, v60
	v_sub_f16_e32 v52, v13, v17
	v_sub_f16_e32 v54, v48, v69
	;; [unrolled: 1-line block ×8, first 2 shown]
	v_pack_b32_f16 v28, v27, v28
	v_fma_f16 v17, v13, 2.0, -v52
	v_fma_f16 v18, v48, 2.0, -v54
	;; [unrolled: 1-line block ×4, first 2 shown]
	v_sub_f16_e32 v26, v52, v26
	v_add_f16_e32 v27, v54, v55
	v_fma_f16 v19, v19, 2.0, -v24
	v_fma_f16 v49, v58, 2.0, -v64
	;; [unrolled: 1-line block ×4, first 2 shown]
	v_pack_b32_f16 v25, v25, v57
	ds_write_b32 v44, v28
	ds_write2_b32 v39, v22, v25 offset0:13 offset1:17
	v_sub_f16_e32 v14, v17, v13
	v_sub_f16_e32 v28, v18, v48
	v_fma_f16 v13, v52, 2.0, -v26
	v_fma_f16 v48, v54, 2.0, -v27
	v_pack_b32_f16 v19, v19, v49
	v_pack_b32_f16 v20, v20, v50
	;; [unrolled: 1-line block ×6, first 2 shown]
	ds_write2_b32 v39, v56, v59 offset0:39 offset1:43
	ds_write2_b32 v39, v19, v20 offset0:4 offset1:8
	;; [unrolled: 1-line block ×4, first 2 shown]
	ds_write_b32 v39, v53 offset:188
	s_and_saveexec_b32 s0, vcc_lo
	s_cbranch_execz .LBB0_5
; %bb.4:
	v_fma_f16 v17, v17, 2.0, -v14
	v_fma_f16 v18, v18, 2.0, -v28
	v_perm_b32 v19, v48, v13, 0x5040100
	v_perm_b32 v20, v28, v14, 0x5040100
	v_pack_b32_f16 v17, v17, v18
	v_perm_b32 v18, v27, v26, 0x5040100
	ds_write2_b32 v47, v17, v19 offset0:12 offset1:25
	ds_write2_b32 v47, v20, v18 offset0:38 offset1:51
.LBB0_5:
	s_or_b32 exec_lo, exec_lo, s0
	s_waitcnt lgkmcnt(0)
	s_barrier
	buffer_gl0_inv
	global_load_dword v15, v[15:16], off offset:208
	s_add_u32 s0, s12, 0xd0
	s_addc_u32 s1, s13, 0
	s_clause 0xb
	global_load_dword v53, v45, s[0:1] offset:16
	global_load_dword v54, v45, s[0:1] offset:32
	;; [unrolled: 1-line block ×12, first 2 shown]
	ds_read_b32 v16, v44
	v_add_nc_u32_e32 v25, v47, v45
	v_mov_b32_e32 v22, 0xba95
	v_mov_b32_e32 v21, 0x388b
	;; [unrolled: 1-line block ×7, first 2 shown]
	s_waitcnt lgkmcnt(0)
	v_lshrrev_b32_e32 v17, 16, v16
	s_waitcnt vmcnt(12)
	v_mul_f16_sdwa v18, v17, v15 dst_sel:DWORD dst_unused:UNUSED_PAD src0_sel:DWORD src1_sel:WORD_1
	v_mul_f16_sdwa v19, v16, v15 dst_sel:DWORD dst_unused:UNUSED_PAD src0_sel:DWORD src1_sel:WORD_1
	v_fma_f16 v16, v16, v15, -v18
	v_fmac_f16_e32 v19, v17, v15
	v_pack_b32_f16 v15, v16, v19
	ds_write_b32 v44, v15
	ds_read2_b32 v[15:16], v39 offset0:4 offset1:8
	ds_read_b32 v65, v25 offset:48
	ds_read2_b32 v[17:18], v39 offset0:16 offset1:20
	ds_read2_b32 v[19:20], v39 offset0:24 offset1:28
	;; [unrolled: 1-line block ×4, first 2 shown]
	ds_read_b32 v68, v39 offset:192
	s_waitcnt lgkmcnt(6)
	v_lshrrev_b32_e32 v69, 16, v15
	s_waitcnt vmcnt(11)
	v_mul_f16_sdwa v70, v15, v53 dst_sel:DWORD dst_unused:UNUSED_PAD src0_sel:DWORD src1_sel:WORD_1
	v_lshrrev_b32_e32 v71, 16, v16
	s_waitcnt vmcnt(10)
	v_mul_f16_sdwa v72, v16, v54 dst_sel:DWORD dst_unused:UNUSED_PAD src0_sel:DWORD src1_sel:WORD_1
	s_waitcnt lgkmcnt(5)
	v_lshrrev_b32_e32 v73, 16, v65
	s_waitcnt vmcnt(9)
	v_mul_f16_sdwa v74, v65, v55 dst_sel:DWORD dst_unused:UNUSED_PAD src0_sel:DWORD src1_sel:WORD_1
	s_waitcnt lgkmcnt(4)
	v_lshrrev_b32_e32 v75, 16, v17
	s_waitcnt vmcnt(8)
	v_mul_f16_sdwa v76, v17, v56 dst_sel:DWORD dst_unused:UNUSED_PAD src0_sel:DWORD src1_sel:WORD_1
	v_lshrrev_b32_e32 v77, 16, v18
	s_waitcnt vmcnt(7)
	v_mul_f16_sdwa v78, v18, v57 dst_sel:DWORD dst_unused:UNUSED_PAD src0_sel:DWORD src1_sel:WORD_1
	s_waitcnt lgkmcnt(3)
	v_lshrrev_b32_e32 v79, 16, v19
	s_waitcnt vmcnt(6)
	v_mul_f16_sdwa v80, v19, v58 dst_sel:DWORD dst_unused:UNUSED_PAD src0_sel:DWORD src1_sel:WORD_1
	;; [unrolled: 7-line block ×4, first 2 shown]
	v_lshrrev_b32_e32 v89, 16, v52
	s_waitcnt vmcnt(1)
	v_mul_f16_sdwa v90, v52, v63 dst_sel:DWORD dst_unused:UNUSED_PAD src0_sel:DWORD src1_sel:WORD_1
	s_waitcnt lgkmcnt(0)
	v_lshrrev_b32_e32 v91, 16, v68
	v_mul_f16_sdwa v93, v69, v53 dst_sel:DWORD dst_unused:UNUSED_PAD src0_sel:DWORD src1_sel:WORD_1
	v_fmac_f16_e32 v70, v69, v53
	v_mul_f16_sdwa v69, v71, v54 dst_sel:DWORD dst_unused:UNUSED_PAD src0_sel:DWORD src1_sel:WORD_1
	v_fmac_f16_e32 v72, v71, v54
	;; [unrolled: 2-line block ×8, first 2 shown]
	v_mul_f16_sdwa v83, v85, v61 dst_sel:DWORD dst_unused:UNUSED_PAD src0_sel:DWORD src1_sel:WORD_1
	s_waitcnt vmcnt(0)
	v_mul_f16_sdwa v92, v68, v64 dst_sel:DWORD dst_unused:UNUSED_PAD src0_sel:DWORD src1_sel:WORD_1
	v_fmac_f16_e32 v86, v85, v61
	v_mul_f16_sdwa v85, v87, v62 dst_sel:DWORD dst_unused:UNUSED_PAD src0_sel:DWORD src1_sel:WORD_1
	v_fmac_f16_e32 v88, v87, v62
	;; [unrolled: 2-line block ×3, first 2 shown]
	v_mul_f16_sdwa v89, v91, v64 dst_sel:DWORD dst_unused:UNUSED_PAD src0_sel:DWORD src1_sel:WORD_1
	v_fma_f16 v15, v15, v53, -v93
	v_fma_f16 v16, v16, v54, -v69
	;; [unrolled: 1-line block ×9, first 2 shown]
	v_fmac_f16_e32 v92, v91, v64
	v_fma_f16 v51, v51, v62, -v85
	v_fma_f16 v52, v52, v63, -v87
	;; [unrolled: 1-line block ×3, first 2 shown]
	v_pack_b32_f16 v15, v15, v70
	v_pack_b32_f16 v16, v16, v72
	;; [unrolled: 1-line block ×12, first 2 shown]
	ds_write2_b32 v39, v15, v16 offset0:4 offset1:8
	ds_write_b32 v25, v53 offset:48
	ds_write2_b32 v39, v17, v18 offset0:16 offset1:20
	ds_write2_b32 v39, v19, v20 offset0:24 offset1:28
	;; [unrolled: 1-line block ×4, first 2 shown]
	ds_write_b32 v39, v54 offset:192
	s_waitcnt lgkmcnt(0)
	s_barrier
	buffer_gl0_inv
	ds_read2_b32 v[49:50], v39 offset0:4 offset1:8
	ds_read_b32 v19, v44
	ds_read_b32 v20, v39 offset:192
	ds_read2_b32 v[15:16], v39 offset0:40 offset1:44
	ds_read_b32 v57, v25 offset:48
	ds_read2_b32 v[51:52], v39 offset0:16 offset1:20
	ds_read2_b32 v[17:18], v39 offset0:32 offset1:36
	;; [unrolled: 1-line block ×3, first 2 shown]
	v_mov_b32_e32 v55, 0xb9fd
	v_mov_b32_e32 v56, 0xb3a8
	;; [unrolled: 1-line block ×10, first 2 shown]
	s_waitcnt lgkmcnt(0)
	s_barrier
	buffer_gl0_inv
	v_pk_add_f16 v68, v19, v49
	v_pk_add_f16 v69, v20, v49
	;; [unrolled: 1-line block ×3, first 2 shown]
	v_pk_add_f16 v71, v50, v16 neg_lo:[0,1] neg_hi:[0,1]
	v_pk_add_f16 v49, v49, v20 neg_lo:[0,1] neg_hi:[0,1]
	v_pk_add_f16 v50, v68, v50
	v_pk_add_f16 v72, v15, v57
	v_pk_add_f16 v73, v57, v15 neg_lo:[0,1] neg_hi:[0,1]
	v_mul_f16_sdwa v82, v69, v21 dst_sel:DWORD dst_unused:UNUSED_PAD src0_sel:WORD_1 src1_sel:DWORD
	v_pk_mul_f16 v68, 0xb770, v49 op_sel_hi:[0,1]
	v_pk_add_f16 v50, v50, v57
	v_mul_f16_sdwa v81, v49, v22 dst_sel:DWORD dst_unused:UNUSED_PAD src0_sel:WORD_1 src1_sel:DWORD
	v_mul_f16_sdwa v83, v49, v45 dst_sel:DWORD dst_unused:UNUSED_PAD src0_sel:WORD_1 src1_sel:DWORD
	;; [unrolled: 1-line block ×4, first 2 shown]
	v_pk_add_f16 v50, v50, v51
	v_pk_mul_f16 v89, 0xba95, v71 op_sel_hi:[0,1]
	v_pk_fma_f16 v57, 0x3b15, v69, v68 op_sel:[0,0,1] op_sel_hi:[0,1,0]
	v_pk_fma_f16 v68, 0x3b15, v69, v68 op_sel:[0,0,1] op_sel_hi:[0,1,0] neg_lo:[0,0,1] neg_hi:[0,0,1]
	v_pk_add_f16 v74, v18, v51
	v_pk_add_f16 v50, v50, v52
	v_pk_add_f16 v75, v51, v18 neg_lo:[0,1] neg_hi:[0,1]
	v_mul_f16_sdwa v84, v69, v24 dst_sel:DWORD dst_unused:UNUSED_PAD src0_sel:WORD_1 src1_sel:DWORD
	v_mul_f16_sdwa v86, v69, v66 dst_sel:DWORD dst_unused:UNUSED_PAD src0_sel:WORD_1 src1_sel:DWORD
	;; [unrolled: 1-line block ×8, first 2 shown]
	v_pk_mul_f16 v98, 0xbbf1, v73 op_sel_hi:[0,1]
	v_pk_mul_f16 v117, 0xbbc4, v69 op_sel_hi:[0,1]
	v_fmamk_f16 v121, v69, 0x388b, v81
	v_fmamk_f16 v122, v49, 0x3a95, v82
	v_fma_f16 v81, v69, 0x388b, -v81
	v_fmamk_f16 v123, v69, 0x2fb7, v83
	v_fma_f16 v83, v69, 0x2fb7, -v83
	;; [unrolled: 2-line block ×4, first 2 shown]
	v_pk_fma_f16 v87, 0x388b, v70, v89 op_sel:[0,0,1] op_sel_hi:[0,1,0]
	v_pk_fma_f16 v89, 0x388b, v70, v89 op_sel:[0,0,1] op_sel_hi:[0,1,0] neg_lo:[0,0,1] neg_hi:[0,0,1]
	v_bfi_b32 v51, 0xffff, v57, v68
	v_pk_add_f16 v50, v50, v53
	v_pk_add_f16 v77, v52, v17 neg_lo:[0,1] neg_hi:[0,1]
	v_mul_f16_sdwa v93, v70, v58 dst_sel:DWORD dst_unused:UNUSED_PAD src0_sel:WORD_1 src1_sel:DWORD
	v_mul_f16_sdwa v95, v70, v55 dst_sel:DWORD dst_unused:UNUSED_PAD src0_sel:WORD_1 src1_sel:DWORD
	;; [unrolled: 1-line block ×8, first 2 shown]
	v_pk_mul_f16 v105, 0xbb7b, v75 op_sel_hi:[0,1]
	v_pk_mul_f16 v118, 0x3b15, v70 op_sel_hi:[0,1]
	v_fmac_f16_e32 v82, 0xba95, v49
	v_fmamk_f16 v124, v49, 0x3bf1, v84
	v_fmac_f16_e32 v84, 0xbbf1, v49
	v_fmamk_f16 v129, v70, 0xb5ac, v90
	v_fmamk_f16 v130, v71, 0x3b7b, v91
	v_fma_f16 v90, v70, 0xb5ac, -v90
	v_fmamk_f16 v131, v70, 0xbbc4, v92
	v_fma_f16 v92, v70, 0xbbc4, -v92
	;; [unrolled: 2-line block ×4, first 2 shown]
	v_pk_fma_f16 v96, 0x2fb7, v72, v98 op_sel:[0,0,1] op_sel_hi:[0,1,0]
	v_pk_fma_f16 v98, 0x2fb7, v72, v98 op_sel:[0,0,1] op_sel_hi:[0,1,0] neg_lo:[0,0,1] neg_hi:[0,0,1]
	v_add_f16_e32 v121, v19, v121
	v_add_f16_sdwa v122, v19, v122 dst_sel:DWORD dst_unused:UNUSED_PAD src0_sel:WORD_1 src1_sel:DWORD
	v_bfi_b32 v171, 0xffff, v87, v89
	v_pk_add_f16 v51, v19, v51
	v_pk_add_f16 v50, v50, v54
	;; [unrolled: 1-line block ×3, first 2 shown]
	v_pk_add_f16 v79, v53, v54 neg_lo:[0,1] neg_hi:[0,1]
	v_mul_f16_sdwa v100, v72, v66 dst_sel:DWORD dst_unused:UNUSED_PAD src0_sel:WORD_1 src1_sel:DWORD
	v_mul_f16_sdwa v102, v72, v63 dst_sel:DWORD dst_unused:UNUSED_PAD src0_sel:WORD_1 src1_sel:DWORD
	;; [unrolled: 1-line block ×8, first 2 shown]
	v_pk_mul_f16 v112, 0xb94e, v77 op_sel_hi:[0,1]
	v_pk_mul_f16 v119, 0xb9fd, v72 op_sel_hi:[0,1]
	v_fmamk_f16 v126, v49, 0x3b7b, v86
	v_fmac_f16_e32 v91, 0xbb7b, v71
	v_fmamk_f16 v132, v71, 0x33a8, v93
	v_fmac_f16_e32 v93, 0xb3a8, v71
	v_fmamk_f16 v137, v72, 0xbbc4, v56
	v_fmamk_f16 v138, v73, 0x33a8, v99
	v_fma_f16 v56, v72, 0xbbc4, -v56
	v_fmamk_f16 v139, v72, 0xb5ac, v61
	v_fma_f16 v61, v72, 0xb5ac, -v61
	v_fmamk_f16 v141, v72, 0x3b15, v101
	v_fma_f16 v101, v72, 0x3b15, -v101
	v_fmamk_f16 v143, v72, 0x388b, v103
	v_fma_f16 v72, v72, 0x388b, -v103
	v_pk_fma_f16 v103, 0xb5ac, v74, v105 op_sel:[0,0,1] op_sel_hi:[0,1,0]
	v_pk_fma_f16 v105, 0xb5ac, v74, v105 op_sel:[0,0,1] op_sel_hi:[0,1,0] neg_lo:[0,0,1] neg_hi:[0,0,1]
	v_add_f16_e32 v81, v19, v81
	v_add_f16_sdwa v82, v19, v82 dst_sel:DWORD dst_unused:UNUSED_PAD src0_sel:WORD_1 src1_sel:DWORD
	v_add_f16_e32 v123, v19, v123
	v_add_f16_sdwa v124, v19, v124 dst_sel:DWORD dst_unused:UNUSED_PAD src0_sel:WORD_1 src1_sel:DWORD
	;; [unrolled: 2-line block ×3, first 2 shown]
	v_bfi_b32 v172, 0xffff, v96, v98
	v_add_f16_e32 v52, v129, v121
	v_add_f16_e32 v121, v130, v122
	v_pk_add_f16 v51, v171, v51
	v_pk_add_f16 v17, v50, v17
	;; [unrolled: 1-line block ×3, first 2 shown]
	v_mul_f16_sdwa v108, v74, v63 dst_sel:DWORD dst_unused:UNUSED_PAD src0_sel:WORD_1 src1_sel:DWORD
	v_mul_f16_sdwa v109, v74, v24 dst_sel:DWORD dst_unused:UNUSED_PAD src0_sel:WORD_1 src1_sel:DWORD
	;; [unrolled: 1-line block ×5, first 2 shown]
	v_pk_mul_f16 v116, 0xb3a8, v79 op_sel_hi:[0,1]
	v_pk_mul_f16 v120, 0x388b, v74 op_sel_hi:[0,1]
	v_fmamk_f16 v134, v71, 0xb94e, v95
	v_fmac_f16_e32 v99, 0xb3a8, v73
	v_fmamk_f16 v140, v73, 0xbb7b, v100
	v_fmac_f16_e32 v100, 0x3b7b, v73
	v_fmamk_f16 v145, v74, 0xb9fd, v59
	v_fmamk_f16 v146, v75, 0xb94e, v106
	v_fma_f16 v59, v74, 0xb9fd, -v59
	v_fmamk_f16 v147, v74, 0x3b15, v107
	v_fma_f16 v107, v74, 0x3b15, -v107
	;; [unrolled: 2-line block ×4, first 2 shown]
	v_pk_fma_f16 v110, 0xb9fd, v76, v112 op_sel:[0,0,1] op_sel_hi:[0,1,0]
	v_pk_fma_f16 v112, 0xb9fd, v76, v112 op_sel:[0,0,1] op_sel_hi:[0,1,0] neg_lo:[0,0,1] neg_hi:[0,0,1]
	v_add_f16_e32 v125, v19, v125
	v_add_f16_sdwa v126, v19, v126 dst_sel:DWORD dst_unused:UNUSED_PAD src0_sel:WORD_1 src1_sel:DWORD
	v_bfi_b32 v173, 0xffff, v103, v105
	v_add_f16_e32 v81, v90, v81
	v_add_f16_e32 v82, v91, v82
	v_add_f16_e32 v90, v131, v123
	v_add_f16_e32 v91, v132, v124
	v_add_f16_e32 v83, v92, v83
	v_add_f16_e32 v84, v93, v84
	v_add_f16_e32 v52, v137, v52
	v_add_f16_e32 v53, v138, v121
	v_pk_add_f16 v51, v172, v51
	v_pk_add_f16 v17, v17, v18
	v_alignbit_b32 v80, s0, v19, 16
	v_mul_f16_sdwa v22, v77, v22 dst_sel:DWORD dst_unused:UNUSED_PAD src0_sel:WORD_1 src1_sel:DWORD
	v_mul_f16_sdwa v113, v76, v21 dst_sel:DWORD dst_unused:UNUSED_PAD src0_sel:WORD_1 src1_sel:DWORD
	;; [unrolled: 1-line block ×6, first 2 shown]
	v_fmamk_f16 v128, v49, 0x394e, v88
	v_fmac_f16_e32 v88, 0xb94e, v49
	v_fmamk_f16 v142, v73, 0xb770, v102
	v_fmac_f16_e32 v106, 0x394e, v75
	;; [unrolled: 2-line block ×3, first 2 shown]
	v_fmamk_f16 v153, v76, 0x2fb7, v60
	v_fmamk_f16 v154, v77, 0xbbf1, v24
	v_pk_fma_f16 v161, 0xbbc4, v78, v116 op_sel:[0,0,1] op_sel_hi:[0,1,0]
	v_pk_fma_f16 v116, 0xbbc4, v78, v116 op_sel:[0,0,1] op_sel_hi:[0,1,0] neg_lo:[0,0,1] neg_hi:[0,0,1]
	v_pk_fma_f16 v170, 0xb3a8, v49, v117 op_sel:[0,0,1] op_sel_hi:[0,1,0]
	v_bfi_b32 v174, 0xffff, v110, v112
	v_add_f16_e32 v92, v133, v125
	v_add_f16_e32 v93, v134, v126
	;; [unrolled: 1-line block ×10, first 2 shown]
	v_pk_add_f16 v50, v173, v51
	v_pk_add_f16 v15, v17, v15
	v_mul_f16_sdwa v64, v77, v64 dst_sel:DWORD dst_unused:UNUSED_PAD src0_sel:WORD_1 src1_sel:DWORD
	v_mul_f16_sdwa v58, v76, v58 dst_sel:DWORD dst_unused:UNUSED_PAD src0_sel:WORD_1 src1_sel:DWORD
	;; [unrolled: 1-line block ×4, first 2 shown]
	v_fmac_f16_e32 v86, 0xbb7b, v49
	v_fmamk_f16 v136, v71, 0xbbf1, v97
	v_fmac_f16_e32 v97, 0x3bf1, v71
	v_fmamk_f16 v150, v75, 0x3bf1, v109
	v_fma_f16 v60, v76, 0x2fb7, -v60
	v_fmac_f16_e32 v24, 0x3bf1, v77
	v_fmamk_f16 v155, v76, 0x388b, v22
	v_fmamk_f16 v156, v77, 0x3a95, v113
	v_fmac_f16_e32 v113, 0xba95, v77
	v_fmamk_f16 v162, v78, 0x3b15, v62
	v_fmamk_f16 v163, v79, 0xb770, v63
	v_pk_fma_f16 v49, 0xb3a8, v49, v117 op_sel:[0,0,1] op_sel_hi:[0,1,0] neg_lo:[0,1,0] neg_hi:[0,1,0]
	v_pk_fma_f16 v117, 0x3770, v71, v118 op_sel:[0,0,1] op_sel_hi:[0,1,0]
	v_add_f16_e32 v69, v19, v69
	v_add_f16_sdwa v88, v19, v88 dst_sel:DWORD dst_unused:UNUSED_PAD src0_sel:WORD_1 src1_sel:DWORD
	v_bfi_b32 v175, 0xffff, v161, v116
	v_pk_add_f16 v80, v80, v170
	v_alignbit_b32 v170, s0, v170, 16
	v_add_f16_e32 v84, v141, v92
	v_add_f16_e32 v91, v142, v93
	;; [unrolled: 1-line block ×9, first 2 shown]
	v_pk_add_f16 v18, v174, v50
	v_pk_add_f16 v15, v15, v16
	v_mul_f16_sdwa v65, v79, v65 dst_sel:DWORD dst_unused:UNUSED_PAD src0_sel:WORD_1 src1_sel:DWORD
	v_mul_f16_sdwa v21, v78, v21 dst_sel:DWORD dst_unused:UNUSED_PAD src0_sel:WORD_1 src1_sel:DWORD
	v_fmac_f16_e32 v95, 0x394e, v71
	v_fma_f16 v22, v76, 0x388b, -v22
	v_fmamk_f16 v157, v76, 0xbbc4, v64
	v_fmamk_f16 v158, v77, 0xb3a8, v58
	v_fma_f16 v62, v78, 0x3b15, -v62
	v_fmamk_f16 v164, v78, 0xb9fd, v67
	v_fmamk_f16 v165, v79, 0x394e, v55
	v_fmac_f16_e32 v55, 0xb94e, v79
	v_pk_fma_f16 v71, 0x3770, v71, v118 op_sel:[0,0,1] op_sel_hi:[0,1,0] neg_lo:[0,1,0] neg_hi:[0,1,0]
	v_pk_fma_f16 v118, 0xb94e, v73, v119 op_sel:[0,0,1] op_sel_hi:[0,1,0]
	v_pk_add_f16 v49, v19, v49 op_sel:[1,0] op_sel_hi:[0,1]
	v_alignbit_b32 v176, s0, v117, 16
	v_add_f16_e32 v69, v70, v69
	v_add_f16_e32 v70, v97, v88
	v_pk_add_f16 v88, v19, v170
	v_add_f16_e32 v61, v107, v61
	v_add_f16_e32 v83, v149, v84
	v_add_f16_e32 v84, v150, v91
	v_add_f16_e32 v53, v60, v54
	v_add_f16_e32 v24, v24, v56
	v_add_f16_e32 v54, v155, v59
	v_add_f16_e32 v56, v156, v81
	v_add_f16_e32 v59, v113, v82
	v_add_f16_e32 v50, v162, v51
	v_add_f16_e32 v51, v163, v52
	v_pk_add_f16 v18, v175, v18
	v_pk_add_f16 v15, v15, v20
	v_fmamk_f16 v166, v78, 0x388b, v65
	v_fmamk_f16 v167, v79, 0xba95, v21
	v_add_f16_e32 v69, v72, v69
	v_pk_add_f16 v72, v176, v88
	v_add_f16_e32 v22, v22, v61
	v_add_f16_e32 v60, v157, v83
	;; [unrolled: 1-line block ×7, first 2 shown]
	v_pack_b32_f16 v50, v50, v51
	ds_write2_b32 v46, v15, v18 offset1:1
	v_pk_add_f16 v15, v71, v49
	v_alignbit_b32 v18, s0, v118, 16
	v_pk_fma_f16 v49, 0xb94e, v73, v119 op_sel:[0,0,1] op_sel_hi:[0,1,0] neg_lo:[0,1,0] neg_hi:[0,1,0]
	v_pk_fma_f16 v51, 0x3a95, v75, v120 op_sel:[0,0,1] op_sel_hi:[0,1,0]
	v_pk_mul_f16 v59, 0xb5ac, v76 op_sel_hi:[0,1]
	v_add_f16_e32 v85, v19, v85
	v_add_f16_sdwa v86, v19, v86 dst_sel:DWORD dst_unused:UNUSED_PAD src0_sel:WORD_1 src1_sel:DWORD
	v_add_f16_e32 v127, v19, v127
	v_add_f16_sdwa v128, v19, v128 dst_sel:DWORD dst_unused:UNUSED_PAD src0_sel:WORD_1 src1_sel:DWORD
	v_add_f16_e32 v55, v166, v60
	v_add_f16_e32 v56, v167, v61
	v_pack_b32_f16 v53, v53, v54
	v_pk_add_f16 v54, v117, v80
	v_pk_add_f16 v18, v18, v72
	v_pk_add_f16 v15, v49, v15
	v_alignbit_b32 v49, s0, v51, 16
	v_pk_fma_f16 v60, 0x3a95, v75, v120 op_sel:[0,0,1] op_sel_hi:[0,1,0] neg_lo:[0,1,0] neg_hi:[0,1,0]
	v_pk_fma_f16 v61, 0xbb7b, v77, v59 op_sel:[0,0,1] op_sel_hi:[0,1,0]
	v_bfi_b32 v57, 0xffff, v68, v57
	v_fmac_f16_e32 v102, 0x3770, v73
	v_fmamk_f16 v144, v73, 0x3a95, v104
	v_add_f16_e32 v85, v94, v85
	v_add_f16_e32 v86, v95, v86
	;; [unrolled: 1-line block ×4, first 2 shown]
	v_fmac_f16_e32 v104, 0xba95, v73
	v_pk_add_f16 v54, v118, v54
	v_pk_add_f16 v18, v49, v18
	;; [unrolled: 1-line block ×3, first 2 shown]
	v_alignbit_b32 v49, s0, v61, 16
	v_pk_mul_f16 v60, 0x2fb7, v78 op_sel_hi:[0,1]
	v_pk_add_f16 v19, v19, v57
	v_bfi_b32 v57, 0xffff, v89, v87
	v_fmac_f16_e32 v109, 0xbbf1, v75
	v_fmamk_f16 v152, v75, 0xb3a8, v111
	v_add_f16_e32 v85, v101, v85
	v_add_f16_e32 v86, v102, v86
	;; [unrolled: 1-line block ×4, first 2 shown]
	v_fmac_f16_e32 v111, 0x33a8, v75
	v_add_f16_e32 v70, v104, v70
	v_pk_add_f16 v51, v51, v54
	v_pk_fma_f16 v54, 0xbb7b, v77, v59 op_sel:[0,0,1] op_sel_hi:[0,1,0] neg_lo:[0,1,0] neg_hi:[0,1,0]
	v_pk_add_f16 v18, v49, v18
	v_pk_fma_f16 v49, 0x3bf1, v79, v60 op_sel:[0,0,1] op_sel_hi:[0,1,0]
	v_pk_add_f16 v19, v57, v19
	v_bfi_b32 v57, 0xffff, v98, v96
	v_mul_f16_sdwa v23, v79, v23 dst_sel:DWORD dst_unused:UNUSED_PAD src0_sel:WORD_1 src1_sel:DWORD
	v_mul_f16_sdwa v66, v78, v66 dst_sel:DWORD dst_unused:UNUSED_PAD src0_sel:WORD_1 src1_sel:DWORD
	v_fma_f16 v64, v76, 0xbbc4, -v64
	v_fmac_f16_e32 v58, 0x33a8, v77
	v_fmamk_f16 v159, v76, 0x3b15, v114
	v_fmamk_f16 v160, v77, 0xb770, v115
	v_add_f16_e32 v45, v45, v85
	v_add_f16_e32 v85, v109, v86
	v_add_f16_e32 v86, v151, v92
	v_add_f16_e32 v88, v152, v93
	v_fma_f16 v114, v76, 0x3b15, -v114
	v_fmac_f16_e32 v115, 0x3770, v77
	v_add_f16_e32 v69, v74, v69
	v_add_f16_e32 v70, v111, v70
	v_pk_add_f16 v15, v54, v15
	v_pk_add_f16 v51, v61, v51
	v_alignbit_b32 v54, s0, v49, 16
	v_pk_fma_f16 v59, 0x3bf1, v79, v60 op_sel:[0,0,1] op_sel_hi:[0,1,0] neg_lo:[0,1,0] neg_hi:[0,1,0]
	v_pk_add_f16 v19, v57, v19
	v_bfi_b32 v57, 0xffff, v105, v103
	v_fmac_f16_e32 v21, 0x3a95, v79
	v_fmamk_f16 v168, v78, 0xb5ac, v23
	v_fmamk_f16 v169, v79, 0x3b7b, v66
	v_add_f16_e32 v45, v64, v45
	v_add_f16_e32 v58, v58, v85
	;; [unrolled: 1-line block ×4, first 2 shown]
	v_fma_f16 v65, v78, 0x388b, -v65
	v_fma_f16 v23, v78, 0xb5ac, -v23
	v_fmac_f16_e32 v66, 0xbb7b, v79
	v_add_f16_e32 v69, v114, v69
	v_add_f16_e32 v70, v115, v70
	v_fmac_f16_e32 v63, 0x3770, v79
	v_fma_f16 v67, v78, 0xb9fd, -v67
	ds_write2_b32 v46, v50, v53 offset0:2 offset1:3
	v_pk_add_f16 v18, v54, v18
	v_pk_add_f16 v15, v59, v15
	v_pk_add_f16 v49, v49, v51
	v_pk_add_f16 v19, v57, v19
	v_bfi_b32 v50, 0xffff, v112, v110
	v_add_f16_e32 v16, v21, v58
	v_add_f16_e32 v21, v168, v64
	;; [unrolled: 1-line block ×8, first 2 shown]
	v_alignbit_b32 v49, v49, v15, 16
	v_pack_b32_f16 v15, v18, v15
	v_pk_add_f16 v18, v50, v19
	v_bfi_b32 v19, 0xffff, v116, v161
	v_pack_b32_f16 v21, v21, v58
	v_pack_b32_f16 v51, v55, v56
	v_pack_b32_f16 v16, v45, v16
	v_pack_b32_f16 v20, v20, v23
	v_pack_b32_f16 v23, v52, v24
	v_pack_b32_f16 v17, v22, v17
	v_pk_add_f16 v45, v19, v18
	ds_write2_b32 v46, v51, v21 offset0:4 offset1:5
	ds_write2_b32 v46, v15, v49 offset0:6 offset1:7
	;; [unrolled: 1-line block ×4, first 2 shown]
	ds_write_b32 v46, v45 offset:48
	s_waitcnt lgkmcnt(0)
	s_barrier
	buffer_gl0_inv
	ds_read2_b32 v[15:16], v39 offset0:4 offset1:8
	ds_read2_b32 v[21:22], v39 offset0:13 offset1:17
	;; [unrolled: 1-line block ×5, first 2 shown]
	ds_read_b32 v50, v44
	ds_read_b32 v49, v39 offset:188
	v_lshrrev_b32_e32 v46, 16, v45
	s_and_saveexec_b32 s0, vcc_lo
	s_cbranch_execz .LBB0_7
; %bb.6:
	ds_read_b32 v45, v25 offset:48
	ds_read2_b32 v[13:14], v47 offset0:25 offset1:38
	ds_read_b32 v26, v47 offset:204
	s_waitcnt lgkmcnt(2)
	v_lshrrev_b32_e32 v46, 16, v45
	s_waitcnt lgkmcnt(1)
	v_lshrrev_b32_e32 v48, 16, v13
	v_lshrrev_b32_e32 v28, 16, v14
	s_waitcnt lgkmcnt(0)
	v_lshrrev_b32_e32 v27, 16, v26
.LBB0_7:
	s_or_b32 exec_lo, exec_lo, s0
	s_waitcnt lgkmcnt(5)
	v_lshrrev_b32_e32 v52, 16, v21
	s_waitcnt lgkmcnt(4)
	v_lshrrev_b32_e32 v53, 16, v18
	s_waitcnt lgkmcnt(3)
	v_lshrrev_b32_e32 v54, 16, v23
	v_lshrrev_b32_e32 v56, 16, v22
	s_waitcnt lgkmcnt(2)
	v_lshrrev_b32_e32 v57, 16, v19
	v_mul_f16_sdwa v59, v9, v52 dst_sel:DWORD dst_unused:UNUSED_PAD src0_sel:WORD_1 src1_sel:DWORD
	v_mul_f16_sdwa v64, v10, v53 dst_sel:DWORD dst_unused:UNUSED_PAD src0_sel:WORD_1 src1_sel:DWORD
	;; [unrolled: 1-line block ×3, first 2 shown]
	v_lshrrev_b32_e32 v58, 16, v24
	v_mul_f16_sdwa v65, v10, v18 dst_sel:DWORD dst_unused:UNUSED_PAD src0_sel:WORD_1 src1_sel:DWORD
	v_fmac_f16_e32 v59, v9, v21
	v_mul_f16_sdwa v21, v9, v21 dst_sel:DWORD dst_unused:UNUSED_PAD src0_sel:WORD_1 src1_sel:DWORD
	v_lshrrev_b32_e32 v61, 16, v17
	v_mul_f16_sdwa v67, v11, v23 dst_sel:DWORD dst_unused:UNUSED_PAD src0_sel:WORD_1 src1_sel:DWORD
	v_fmac_f16_e32 v64, v10, v18
	v_fmac_f16_e32 v66, v11, v23
	v_fma_f16 v9, v9, v52, -v21
	v_mul_f16_sdwa v18, v6, v56 dst_sel:DWORD dst_unused:UNUSED_PAD src0_sel:WORD_1 src1_sel:DWORD
	v_mul_f16_sdwa v21, v6, v22 dst_sel:DWORD dst_unused:UNUSED_PAD src0_sel:WORD_1 src1_sel:DWORD
	;; [unrolled: 1-line block ×3, first 2 shown]
	v_lshrrev_b32_e32 v62, 16, v20
	v_fma_f16 v10, v10, v53, -v65
	v_mul_f16_sdwa v52, v7, v19 dst_sel:DWORD dst_unused:UNUSED_PAD src0_sel:WORD_1 src1_sel:DWORD
	v_mul_f16_sdwa v53, v8, v58 dst_sel:DWORD dst_unused:UNUSED_PAD src0_sel:WORD_1 src1_sel:DWORD
	v_fmac_f16_e32 v18, v6, v22
	v_fma_f16 v6, v6, v56, -v21
	v_fmac_f16_e32 v23, v7, v19
	v_mul_f16_sdwa v19, v8, v24 dst_sel:DWORD dst_unused:UNUSED_PAD src0_sel:WORD_1 src1_sel:DWORD
	v_mul_f16_sdwa v21, v3, v61 dst_sel:DWORD dst_unused:UNUSED_PAD src0_sel:WORD_1 src1_sel:DWORD
	s_waitcnt lgkmcnt(0)
	v_lshrrev_b32_e32 v63, 16, v49
	v_fma_f16 v7, v7, v57, -v52
	v_fmac_f16_e32 v53, v8, v24
	v_mul_f16_sdwa v24, v4, v62 dst_sel:DWORD dst_unused:UNUSED_PAD src0_sel:WORD_1 src1_sel:DWORD
	v_mul_f16_sdwa v52, v4, v20 dst_sel:DWORD dst_unused:UNUSED_PAD src0_sel:WORD_1 src1_sel:DWORD
	v_lshrrev_b32_e32 v51, 16, v50
	v_fma_f16 v11, v11, v54, -v67
	v_mul_f16_sdwa v22, v3, v17 dst_sel:DWORD dst_unused:UNUSED_PAD src0_sel:WORD_1 src1_sel:DWORD
	v_fma_f16 v8, v8, v58, -v19
	v_fmac_f16_e32 v21, v3, v17
	v_sub_f16_e32 v17, v50, v64
	v_sub_f16_e32 v19, v59, v66
	v_fmac_f16_e32 v24, v4, v20
	v_fma_f16 v4, v4, v62, -v52
	v_mul_f16_sdwa v20, v5, v63 dst_sel:DWORD dst_unused:UNUSED_PAD src0_sel:WORD_1 src1_sel:DWORD
	v_mul_f16_sdwa v52, v5, v49 dst_sel:DWORD dst_unused:UNUSED_PAD src0_sel:WORD_1 src1_sel:DWORD
	v_lshrrev_b32_e32 v55, 16, v15
	v_fma_f16 v3, v3, v61, -v22
	v_sub_f16_e32 v10, v51, v10
	v_sub_f16_e32 v11, v9, v11
	v_fma_f16 v22, v50, 2.0, -v17
	v_fma_f16 v50, v59, 2.0, -v19
	v_lshrrev_b32_e32 v60, 16, v16
	v_fmac_f16_e32 v20, v5, v49
	v_fma_f16 v5, v5, v63, -v52
	v_fma_f16 v51, v51, 2.0, -v10
	v_fma_f16 v9, v9, 2.0, -v11
	v_sub_f16_e32 v49, v22, v50
	v_sub_f16_e32 v23, v15, v23
	;; [unrolled: 1-line block ×10, first 2 shown]
	v_fma_f16 v18, v18, 2.0, -v50
	v_add_f16_e32 v11, v17, v11
	v_sub_f16_e32 v19, v10, v19
	v_fma_f16 v6, v6, 2.0, -v8
	v_add_f16_e32 v8, v23, v8
	v_sub_f16_e32 v50, v7, v50
	v_fma_f16 v15, v15, 2.0, -v23
	v_fma_f16 v52, v55, 2.0, -v7
	;; [unrolled: 1-line block ×12, first 2 shown]
	v_sub_f16_e32 v18, v15, v18
	v_sub_f16_e32 v6, v52, v6
	;; [unrolled: 1-line block ×4, first 2 shown]
	v_add_f16_e32 v5, v24, v5
	v_sub_f16_e32 v20, v4, v20
	v_pack_b32_f16 v22, v22, v51
	v_pack_b32_f16 v10, v17, v10
	;; [unrolled: 1-line block ×3, first 2 shown]
	v_fma_f16 v15, v15, 2.0, -v18
	v_fma_f16 v52, v52, 2.0, -v6
	;; [unrolled: 1-line block ×6, first 2 shown]
	ds_write_b32 v44, v22
	v_pack_b32_f16 v11, v11, v19
	ds_write2_b32 v39, v10, v7 offset0:13 offset1:17
	v_pack_b32_f16 v7, v8, v50
	v_pack_b32_f16 v15, v15, v52
	;; [unrolled: 1-line block ×8, first 2 shown]
	ds_write2_b32 v39, v11, v7 offset0:39 offset1:43
	ds_write2_b32 v39, v15, v8 offset0:4 offset1:8
	;; [unrolled: 1-line block ×4, first 2 shown]
	ds_write_b32 v39, v5 offset:188
	s_and_saveexec_b32 s0, vcc_lo
	s_cbranch_execz .LBB0_9
; %bb.8:
	v_mul_f16_sdwa v3, v1, v28 dst_sel:DWORD dst_unused:UNUSED_PAD src0_sel:WORD_1 src1_sel:DWORD
	v_mul_f16_sdwa v4, v0, v13 dst_sel:DWORD dst_unused:UNUSED_PAD src0_sel:WORD_1 src1_sel:DWORD
	;; [unrolled: 1-line block ×6, first 2 shown]
	v_fmac_f16_e32 v3, v1, v14
	v_fma_f16 v4, v0, v48, -v4
	v_fmac_f16_e32 v6, v0, v13
	v_fmac_f16_e32 v7, v2, v26
	v_fma_f16 v0, v1, v28, -v5
	v_fma_f16 v1, v2, v27, -v8
	v_sub_f16_e32 v2, v45, v3
	v_sub_f16_e32 v3, v6, v7
	;; [unrolled: 1-line block ×4, first 2 shown]
	v_fma_f16 v5, v45, 2.0, -v2
	v_fma_f16 v6, v6, 2.0, -v3
	;; [unrolled: 1-line block ×4, first 2 shown]
	v_add_f16_e32 v1, v2, v1
	v_sub_f16_e32 v3, v0, v3
	v_sub_f16_e32 v6, v5, v6
	;; [unrolled: 1-line block ×3, first 2 shown]
	v_fma_f16 v2, v2, 2.0, -v1
	v_fma_f16 v0, v0, 2.0, -v3
	;; [unrolled: 1-line block ×3, first 2 shown]
	v_pack_b32_f16 v1, v1, v3
	v_fma_f16 v7, v7, 2.0, -v4
	v_pack_b32_f16 v0, v2, v0
	v_pack_b32_f16 v2, v6, v4
	;; [unrolled: 1-line block ×3, first 2 shown]
	ds_write2_b32 v47, v0, v2 offset0:25 offset1:38
	ds_write_b32 v25, v4 offset:48
	ds_write_b32 v47, v1 offset:204
.LBB0_9:
	s_or_b32 exec_lo, exec_lo, s0
	s_waitcnt lgkmcnt(0)
	s_barrier
	buffer_gl0_inv
	ds_read_b32 v2, v44
	ds_read2_b32 v[0:1], v39 offset0:4 offset1:8
	ds_read_b32 v3, v39 offset:192
	v_mad_u64_u32 v[10:11], null, s8, v40, 0
	s_mov_b32 s4, 0x13b13b14
	s_mov_b32 s5, 0x3f93b13b
	s_waitcnt lgkmcnt(2)
	v_lshrrev_b32_e32 v4, 16, v2
	v_mul_f16_sdwa v5, v43, v2 dst_sel:DWORD dst_unused:UNUSED_PAD src0_sel:WORD_1 src1_sel:DWORD
	s_waitcnt lgkmcnt(1)
	v_lshrrev_b32_e32 v6, 16, v0
	v_mul_f16_sdwa v7, v42, v0 dst_sel:DWORD dst_unused:UNUSED_PAD src0_sel:WORD_1 src1_sel:DWORD
	v_mul_f16_sdwa v8, v43, v4 dst_sel:DWORD dst_unused:UNUSED_PAD src0_sel:WORD_1 src1_sel:DWORD
	v_fma_f16 v5, v43, v4, -v5
	v_mul_f16_sdwa v15, v42, v6 dst_sel:DWORD dst_unused:UNUSED_PAD src0_sel:WORD_1 src1_sel:DWORD
	v_fma_f16 v4, v42, v6, -v7
	v_mad_u64_u32 v[6:7], null, s10, v12, 0
	v_cvt_f32_f16_e32 v5, v5
	v_fmac_f16_e32 v8, v43, v2
	v_cvt_f32_f16_e32 v2, v4
	v_fmac_f16_e32 v15, v42, v0
	v_cvt_f64_f32_e32 v[4:5], v5
	v_cvt_f32_f16_e32 v13, v8
	v_cvt_f64_f32_e32 v[8:9], v2
	v_cvt_f32_f16_e32 v15, v15
	v_mov_b32_e32 v0, v7
	v_mov_b32_e32 v2, v11
	v_cvt_f64_f32_e32 v[13:14], v13
	v_cvt_f64_f32_e32 v[15:16], v15
	v_mad_u64_u32 v[11:12], null, s11, v12, v[0:1]
	s_waitcnt lgkmcnt(0)
	v_mad_u64_u32 v[17:18], null, s9, v40, v[2:3]
	v_lshrrev_b32_e32 v0, 16, v1
	v_mul_f16_sdwa v2, v41, v1 dst_sel:DWORD dst_unused:UNUSED_PAD src0_sel:WORD_1 src1_sel:DWORD
	v_mov_b32_e32 v7, v11
	v_mul_f16_sdwa v18, v41, v0 dst_sel:DWORD dst_unused:UNUSED_PAD src0_sel:WORD_1 src1_sel:DWORD
	v_mov_b32_e32 v11, v17
	v_fma_f16 v2, v41, v0, -v2
	v_mul_f64 v[4:5], v[4:5], s[4:5]
	v_fmac_f16_e32 v18, v41, v1
	v_mul_f64 v[8:9], v[8:9], s[4:5]
	v_lshlrev_b64 v[0:1], 2, v[6:7]
	v_lshlrev_b64 v[6:7], 2, v[10:11]
	v_cvt_f32_f16_e32 v2, v2
	v_mul_f64 v[12:13], v[13:14], s[4:5]
	ds_read_b32 v14, v25 offset:48
	v_mul_f64 v[10:11], v[15:16], s[4:5]
	v_add_co_u32 v16, vcc_lo, s2, v0
	v_add_co_ci_u32_e32 v17, vcc_lo, s3, v1, vcc_lo
	v_cvt_f32_f16_e32 v15, v18
	v_cvt_f64_f32_e32 v[0:1], v15
	v_and_or_b32 v4, 0x1ff, v5, v4
	v_lshrrev_b32_e32 v15, 8, v5
	v_and_or_b32 v8, 0x1ff, v9, v8
	v_bfe_u32 v18, v5, 20, 11
	v_bfe_u32 v20, v9, 20, 11
	v_cmp_ne_u32_e32 vcc_lo, 0, v4
	v_and_or_b32 v12, 0x1ff, v13, v12
	v_lshrrev_b32_e32 v21, 8, v13
	v_bfe_u32 v22, v13, 20, 11
	v_and_or_b32 v10, 0x1ff, v11, v10
	v_cndmask_b32_e64 v4, 0, 1, vcc_lo
	v_cmp_ne_u32_e32 vcc_lo, 0, v8
	v_lshrrev_b32_e32 v19, 8, v9
	v_sub_nc_u32_e32 v27, 0x3f1, v22
	v_sub_nc_u32_e32 v23, 0x3f1, v18
	v_lshrrev_b32_e32 v24, 8, v11
	v_cndmask_b32_e64 v8, 0, 1, vcc_lo
	v_cmp_ne_u32_e32 vcc_lo, 0, v12
	v_sub_nc_u32_e32 v26, 0x3f1, v20
	v_and_or_b32 v4, 0xffe, v15, v4
	v_add_nc_u32_e32 v18, 0xfffffc10, v18
	v_bfe_u32 v25, v11, 20, 11
	v_cndmask_b32_e64 v12, 0, 1, vcc_lo
	v_cmp_ne_u32_e32 vcc_lo, 0, v10
	v_med3_i32 v15, v23, 0, 13
	v_and_or_b32 v8, 0xffe, v19, v8
	v_med3_i32 v19, v26, 0, 13
	v_and_or_b32 v12, 0xffe, v21, v12
	v_cndmask_b32_e64 v10, 0, 1, vcc_lo
	v_med3_i32 v21, v27, 0, 13
	v_or_b32_e32 v26, 0x1000, v4
	v_cmp_ne_u32_e32 vcc_lo, 0, v4
	v_or_b32_e32 v27, 0x1000, v12
	v_and_or_b32 v10, 0xffe, v24, v10
	v_add_nc_u32_e32 v22, 0xfffffc10, v22
	v_sub_nc_u32_e32 v23, 0x3f1, v25
	v_lshl_or_b32 v28, v18, 12, v4
	v_lshrrev_b32_e32 v24, v21, v27
	v_cndmask_b32_e64 v4, 0, 1, vcc_lo
	v_lshrrev_b32_e32 v40, v15, v26
	v_cmp_ne_u32_e32 vcc_lo, 0, v12
	v_med3_i32 v23, v23, 0, 13
	v_lshlrev_b32_e32 v21, v21, v24
	v_lshl_or_b32 v42, v22, 12, v12
	v_or_b32_e32 v43, 0x1000, v10
	v_lshlrev_b32_e32 v15, v15, v40
	v_cndmask_b32_e64 v12, 0, 1, vcc_lo
	v_cmp_ne_u32_e32 vcc_lo, v21, v27
	v_add_nc_u32_e32 v25, 0xfffffc10, v25
	v_lshrrev_b32_e32 v27, v23, v43
	v_lshrrev_b32_e32 v13, 16, v13
	v_lshl_or_b32 v12, v12, 9, 0x7c00
	v_cndmask_b32_e64 v21, 0, 1, vcc_lo
	v_cmp_ne_u32_e32 vcc_lo, v15, v26
	v_lshlrev_b32_e32 v23, v23, v27
	v_or_b32_e32 v41, 0x1000, v8
	v_lshl_or_b32 v4, v4, 9, 0x7c00
	v_or_b32_e32 v21, v24, v21
	v_cndmask_b32_e64 v15, 0, 1, vcc_lo
	v_cmp_gt_i32_e32 vcc_lo, 1, v22
	v_lshl_or_b32 v24, v25, 12, v10
	v_lshrrev_b32_e32 v5, 16, v5
	v_mul_f64 v[0:1], v[0:1], s[4:5]
	v_or_b32_e32 v15, v40, v15
	v_cndmask_b32_e32 v21, v42, v21, vcc_lo
	v_cmp_ne_u32_e32 vcc_lo, v23, v43
	v_and_b32_e32 v26, 7, v21
	v_cndmask_b32_e64 v23, 0, 1, vcc_lo
	v_cmp_gt_i32_e32 vcc_lo, 1, v18
	v_lshrrev_b32_e32 v21, 2, v21
	v_cmp_eq_u32_e64 s0, 3, v26
	v_or_b32_e32 v23, v27, v23
	v_cndmask_b32_e32 v15, v28, v15, vcc_lo
	v_cmp_ne_u32_e32 vcc_lo, 0, v10
	v_and_b32_e32 v28, 7, v15
	v_cndmask_b32_e64 v10, 0, 1, vcc_lo
	v_cmp_lt_i32_e32 vcc_lo, 5, v26
	v_lshrrev_b32_e32 v15, 2, v15
	v_and_or_b32 v0, 0x1ff, v1, v0
	v_cmp_lt_i32_e64 s1, 5, v28
	v_cmp_eq_u32_e64 s2, 3, v28
	s_or_b32 vcc_lo, s0, vcc_lo
	v_lshl_or_b32 v10, v10, 9, 0x7c00
	v_add_co_ci_u32_e32 v21, vcc_lo, 0, v21, vcc_lo
	s_or_b32 vcc_lo, s2, s1
	v_cmp_ne_u32_e64 s1, 0, v0
	v_add_co_ci_u32_e32 v15, vcc_lo, 0, v15, vcc_lo
	v_cmp_gt_i32_e32 vcc_lo, 31, v22
	s_lshl_b64 s[2:3], s[8:9], 4
	v_cndmask_b32_e64 v0, 0, 1, s1
	v_cndmask_b32_e32 v21, 0x7c00, v21, vcc_lo
	v_cmp_gt_i32_e32 vcc_lo, 1, v25
	v_cndmask_b32_e32 v23, v24, v23, vcc_lo
	v_cmp_gt_i32_e32 vcc_lo, 31, v18
	v_cndmask_b32_e32 v15, 0x7c00, v15, vcc_lo
	v_cmp_eq_u32_e32 vcc_lo, 0x40f, v22
	v_lshrrev_b32_e32 v22, v19, v41
	v_cndmask_b32_e32 v12, v21, v12, vcc_lo
	v_cmp_eq_u32_e32 vcc_lo, 0x40f, v18
	v_and_b32_e32 v21, 7, v23
	v_add_nc_u32_e32 v18, 0xfffffc10, v20
	v_and_or_b32 v12, 0x8000, v13, v12
	v_cndmask_b32_e32 v4, v15, v4, vcc_lo
	v_cmp_lt_i32_e32 vcc_lo, 5, v21
	v_cmp_eq_u32_e64 s0, 3, v21
	v_lshrrev_b32_e32 v13, 2, v23
	v_and_or_b32 v4, 0x8000, v5, v4
	v_and_b32_e32 v5, 0xffff, v12
	v_lshlrev_b32_e32 v12, v19, v22
	s_or_b32 vcc_lo, s0, vcc_lo
	v_add_co_ci_u32_e32 v13, vcc_lo, 0, v13, vcc_lo
	v_cmp_ne_u32_e32 vcc_lo, v12, v41
	v_lshl_or_b32 v15, v4, 16, v5
	v_cvt_f64_f32_e32 v[4:5], v2
	v_cndmask_b32_e64 v12, 0, 1, vcc_lo
	v_cmp_gt_i32_e32 vcc_lo, 31, v25
	v_or_b32_e32 v12, v22, v12
	v_cndmask_b32_e32 v2, 0x7c00, v13, vcc_lo
	v_add_co_u32 v6, vcc_lo, v16, v6
	v_add_co_ci_u32_e32 v7, vcc_lo, v17, v7, vcc_lo
	v_lshl_or_b32 v13, v18, 12, v8
	v_cmp_gt_i32_e32 vcc_lo, 1, v18
	global_store_dword v[6:7], v15, off
	v_bfe_u32 v15, v1, 20, 11
	v_cndmask_b32_e32 v12, v13, v12, vcc_lo
	v_cmp_eq_u32_e32 vcc_lo, 0x40f, v25
	v_mul_f64 v[4:5], v[4:5], s[4:5]
	v_lshrrev_b32_e32 v13, 16, v11
	v_and_b32_e32 v16, 7, v12
	v_cndmask_b32_e32 v2, v2, v10, vcc_lo
	v_lshrrev_b32_e32 v12, 2, v12
	ds_read2_b32 v[10:11], v39 offset0:16 offset1:20
	v_cmp_lt_i32_e32 vcc_lo, 5, v16
	v_cmp_eq_u32_e64 s0, 3, v16
	v_and_or_b32 v2, 0x8000, v13, v2
	v_lshrrev_b32_e32 v13, 8, v1
	s_waitcnt lgkmcnt(1)
	v_lshrrev_b32_e32 v16, 16, v14
	s_or_b32 vcc_lo, s0, vcc_lo
	v_and_b32_e32 v2, 0xffff, v2
	v_add_co_ci_u32_e32 v12, vcc_lo, 0, v12, vcc_lo
	v_and_or_b32 v0, 0xffe, v13, v0
	v_sub_nc_u32_e32 v13, 0x3f1, v15
	v_cmp_ne_u32_e32 vcc_lo, 0, v8
	v_mul_f16_sdwa v19, v38, v16 dst_sel:DWORD dst_unused:UNUSED_PAD src0_sel:WORD_1 src1_sel:DWORD
	v_and_or_b32 v4, 0x1ff, v5, v4
	v_or_b32_e32 v17, 0x1000, v0
	v_med3_i32 v13, v13, 0, 13
	v_cndmask_b32_e64 v8, 0, 1, vcc_lo
	v_cmp_gt_i32_e32 vcc_lo, 31, v18
	v_fmac_f16_e32 v19, v38, v14
	v_bfe_u32 v21, v5, 20, 11
	v_lshrrev_b32_e32 v20, v13, v17
	v_lshl_or_b32 v8, v8, 9, 0x7c00
	v_cndmask_b32_e32 v12, 0x7c00, v12, vcc_lo
	v_cmp_eq_u32_e32 vcc_lo, 0x40f, v18
	v_lshrrev_b32_e32 v18, 16, v9
	v_lshlrev_b32_e32 v13, v13, v20
	v_add_nc_u32_e32 v15, 0xfffffc10, v15
	v_mul_f16_sdwa v14, v38, v14 dst_sel:DWORD dst_unused:UNUSED_PAD src0_sel:WORD_1 src1_sel:DWORD
	v_cndmask_b32_e32 v12, v12, v8, vcc_lo
	v_cmp_ne_u32_e32 vcc_lo, 0, v4
	v_cvt_f32_f16_e32 v8, v19
	v_lshrrev_b32_e32 v19, 8, v5
	v_fma_f16 v14, v38, v16, -v14
	v_and_or_b32 v12, 0x8000, v18, v12
	v_cndmask_b32_e64 v4, 0, 1, vcc_lo
	v_cmp_ne_u32_e32 vcc_lo, v13, v17
	v_cvt_f64_f32_e32 v[8:9], v8
	v_sub_nc_u32_e32 v17, 0x3f1, v21
	v_lshl_or_b32 v18, v15, 12, v0
	v_and_or_b32 v4, 0xffe, v19, v4
	v_cndmask_b32_e64 v13, 0, 1, vcc_lo
	v_cmp_gt_i32_e32 vcc_lo, 1, v15
	v_med3_i32 v17, v17, 0, 13
	v_lshl_or_b32 v2, v12, 16, v2
	v_or_b32_e32 v19, 0x1000, v4
	v_or_b32_e32 v13, v20, v13
	v_cvt_f32_f16_e32 v12, v14
	v_lshrrev_b32_e32 v5, 16, v5
	v_cndmask_b32_e32 v16, v18, v13, vcc_lo
	v_lshrrev_b32_e32 v18, v17, v19
	v_add_co_u32 v6, vcc_lo, v6, s2
	v_add_co_ci_u32_e32 v7, vcc_lo, s3, v7, vcc_lo
	v_lshlrev_b32_e32 v17, v17, v18
	v_and_b32_e32 v14, 7, v16
	v_mul_f64 v[8:9], v[8:9], s[4:5]
	v_cvt_f64_f32_e32 v[12:13], v12
	global_store_dword v[6:7], v2, off
	v_cmp_ne_u32_e64 s0, v17, v19
	v_cmp_lt_i32_e32 vcc_lo, 5, v14
	v_lshrrev_b32_e32 v2, 2, v16
	v_add_nc_u32_e32 v19, 0xfffffc10, v21
	v_cndmask_b32_e64 v17, 0, 1, s0
	v_cmp_eq_u32_e64 s0, 3, v14
	v_lshl_or_b32 v16, v19, 12, v4
	v_or_b32_e32 v14, v18, v17
	s_or_b32 vcc_lo, s0, vcc_lo
	v_add_co_ci_u32_e32 v2, vcc_lo, 0, v2, vcc_lo
	v_cmp_ne_u32_e32 vcc_lo, 0, v0
	v_and_or_b32 v8, 0x1ff, v9, v8
	v_cndmask_b32_e64 v0, 0, 1, vcc_lo
	v_cmp_gt_i32_e32 vcc_lo, 1, v19
	v_mul_f64 v[12:13], v[12:13], s[4:5]
	v_lshrrev_b32_e32 v17, 8, v9
	v_bfe_u32 v18, v9, 20, 11
	v_lshl_or_b32 v0, v0, 9, 0x7c00
	v_cndmask_b32_e32 v14, v16, v14, vcc_lo
	v_cmp_gt_i32_e32 vcc_lo, 31, v15
	v_and_b32_e32 v16, 7, v14
	v_cndmask_b32_e32 v2, 0x7c00, v2, vcc_lo
	v_cmp_ne_u32_e32 vcc_lo, 0, v8
	v_cmp_eq_u32_e64 s0, 3, v16
	v_cndmask_b32_e64 v8, 0, 1, vcc_lo
	v_cmp_eq_u32_e32 vcc_lo, 0x40f, v15
	v_lshrrev_b32_e32 v15, 16, v1
	v_lshrrev_b32_e32 v1, 2, v14
	v_and_or_b32 v8, 0xffe, v17, v8
	v_cndmask_b32_e32 v2, v2, v0, vcc_lo
	v_cmp_lt_i32_e32 vcc_lo, 5, v16
	v_sub_nc_u32_e32 v0, 0x3f1, v18
	v_and_or_b32 v12, 0x1ff, v13, v12
	v_or_b32_e32 v14, 0x1000, v8
	s_waitcnt lgkmcnt(0)
	v_lshrrev_b32_e32 v17, 16, v10
	s_or_b32 vcc_lo, s0, vcc_lo
	v_med3_i32 v0, v0, 0, 13
	v_add_co_ci_u32_e32 v1, vcc_lo, 0, v1, vcc_lo
	v_cmp_ne_u32_e32 vcc_lo, 0, v4
	v_lshrrev_b32_e32 v21, 8, v13
	v_lshrrev_b32_e32 v16, v0, v14
	v_bfe_u32 v22, v13, 20, 11
	v_and_or_b32 v2, 0x8000, v15, v2
	v_cndmask_b32_e64 v4, 0, 1, vcc_lo
	v_cmp_gt_i32_e32 vcc_lo, 31, v19
	v_lshlrev_b32_e32 v0, v0, v16
	v_lshrrev_b32_e32 v13, 16, v13
	v_and_b32_e32 v2, 0xffff, v2
	v_lshl_or_b32 v4, v4, 9, 0x7c00
	v_cndmask_b32_e32 v20, 0x7c00, v1, vcc_lo
	v_mul_f16_sdwa v1, v37, v17 dst_sel:DWORD dst_unused:UNUSED_PAD src0_sel:WORD_1 src1_sel:DWORD
	v_cmp_ne_u32_e32 vcc_lo, 0, v12
	v_fmac_f16_e32 v1, v37, v10
	v_cndmask_b32_e64 v12, 0, 1, vcc_lo
	v_cmp_ne_u32_e32 vcc_lo, v0, v14
	v_add_nc_u32_e32 v14, 0xfffffc10, v18
	v_sub_nc_u32_e32 v18, 0x3f1, v22
	v_cvt_f32_f16_e32 v1, v1
	v_and_or_b32 v12, 0xffe, v21, v12
	v_cndmask_b32_e64 v0, 0, 1, vcc_lo
	v_lshl_or_b32 v21, v14, 12, v8
	v_med3_i32 v18, v18, 0, 13
	v_cmp_gt_i32_e32 vcc_lo, 1, v14
	v_or_b32_e32 v23, 0x1000, v12
	v_or_b32_e32 v16, v16, v0
	v_cvt_f64_f32_e32 v[0:1], v1
	v_mul_f16_sdwa v10, v37, v10 dst_sel:DWORD dst_unused:UNUSED_PAD src0_sel:WORD_1 src1_sel:DWORD
	v_cndmask_b32_e32 v16, v21, v16, vcc_lo
	v_cmp_eq_u32_e32 vcc_lo, 0x40f, v19
	v_lshrrev_b32_e32 v19, v18, v23
	v_and_b32_e32 v15, 7, v16
	v_cndmask_b32_e32 v4, v20, v4, vcc_lo
	v_lshlrev_b32_e32 v18, v18, v19
	v_cmp_lt_i32_e32 vcc_lo, 5, v15
	v_and_or_b32 v20, 0x8000, v5, v4
	v_fma_f16 v4, v37, v17, -v10
	v_cmp_ne_u32_e64 s0, v18, v23
	v_add_nc_u32_e32 v10, 0xfffffc10, v22
	v_lshl_or_b32 v2, v20, 16, v2
	v_cvt_f32_f16_e32 v4, v4
	v_cndmask_b32_e64 v5, 0, 1, s0
	v_cmp_eq_u32_e64 s0, 3, v15
	v_lshrrev_b32_e32 v15, 2, v16
	v_mul_f64 v[0:1], v[0:1], s[4:5]
	v_lshl_or_b32 v17, v10, 12, v12
	v_or_b32_e32 v16, v19, v5
	v_cvt_f64_f32_e32 v[4:5], v4
	s_or_b32 vcc_lo, s0, vcc_lo
	v_add_co_ci_u32_e32 v15, vcc_lo, 0, v15, vcc_lo
	v_cmp_ne_u32_e32 vcc_lo, 0, v8
	v_cndmask_b32_e64 v8, 0, 1, vcc_lo
	v_cmp_gt_i32_e32 vcc_lo, 1, v10
	v_lshl_or_b32 v8, v8, 9, 0x7c00
	v_cndmask_b32_e32 v16, v17, v16, vcc_lo
	v_cmp_gt_i32_e32 vcc_lo, 31, v14
	v_and_or_b32 v0, 0x1ff, v1, v0
	v_and_b32_e32 v17, 7, v16
	v_cndmask_b32_e32 v15, 0x7c00, v15, vcc_lo
	v_add_co_u32 v6, vcc_lo, v6, s2
	v_add_co_ci_u32_e32 v7, vcc_lo, s3, v7, vcc_lo
	v_cmp_eq_u32_e32 vcc_lo, 0x40f, v14
	v_mul_f64 v[4:5], v[4:5], s[4:5]
	v_cmp_ne_u32_e64 s1, 0, v0
	v_cmp_eq_u32_e64 s0, 3, v17
	global_store_dword v[6:7], v2, off
	v_cndmask_b32_e32 v14, v15, v8, vcc_lo
	v_cmp_lt_i32_e32 vcc_lo, 5, v17
	v_lshrrev_b32_e32 v8, 2, v16
	v_lshrrev_b32_e32 v16, 16, v11
	v_lshrrev_b32_e32 v15, 16, v9
	v_cndmask_b32_e64 v0, 0, 1, s1
	v_lshrrev_b32_e32 v9, 8, v1
	v_bfe_u32 v17, v1, 20, 11
	s_or_b32 vcc_lo, s0, vcc_lo
	v_mul_f16_sdwa v18, v36, v16 dst_sel:DWORD dst_unused:UNUSED_PAD src0_sel:WORD_1 src1_sel:DWORD
	v_add_co_ci_u32_e32 v8, vcc_lo, 0, v8, vcc_lo
	v_and_or_b32 v0, 0xffe, v9, v0
	v_sub_nc_u32_e32 v9, 0x3f1, v17
	v_cmp_ne_u32_e32 vcc_lo, 0, v12
	v_fmac_f16_e32 v18, v36, v11
	v_and_or_b32 v14, 0x8000, v15, v14
	v_or_b32_e32 v19, 0x1000, v0
	v_med3_i32 v20, v9, 0, 13
	v_cndmask_b32_e64 v12, 0, 1, vcc_lo
	v_cmp_gt_i32_e32 vcc_lo, 31, v10
	v_cvt_f32_f16_e32 v9, v18
	v_and_or_b32 v4, 0x1ff, v5, v4
	v_lshrrev_b32_e32 v21, v20, v19
	v_lshl_or_b32 v12, v12, 9, 0x7c00
	v_cndmask_b32_e32 v18, 0x7c00, v8, vcc_lo
	v_cmp_eq_u32_e32 vcc_lo, 0x40f, v10
	v_cvt_f64_f32_e32 v[8:9], v9
	v_lshrrev_b32_e32 v15, 8, v5
	v_add_nc_u32_e32 v17, 0xfffffc10, v17
	v_mul_f16_sdwa v11, v36, v11 dst_sel:DWORD dst_unused:UNUSED_PAD src0_sel:WORD_1 src1_sel:DWORD
	v_cndmask_b32_e32 v10, v18, v12, vcc_lo
	v_lshlrev_b32_e32 v12, v20, v21
	v_cmp_ne_u32_e32 vcc_lo, 0, v4
	v_bfe_u32 v18, v5, 20, 11
	v_and_b32_e32 v14, 0xffff, v14
	v_and_or_b32 v10, 0x8000, v13, v10
	v_fma_f16 v2, v36, v16, -v11
	v_cndmask_b32_e64 v4, 0, 1, vcc_lo
	v_cmp_ne_u32_e32 vcc_lo, v12, v19
	v_lshl_or_b32 v19, v17, 12, v0
	v_lshl_or_b32 v14, v10, 16, v14
	v_cvt_f32_f16_e32 v2, v2
	v_and_or_b32 v4, 0xffe, v15, v4
	v_cndmask_b32_e64 v12, 0, 1, vcc_lo
	v_sub_nc_u32_e32 v15, 0x3f1, v18
	v_cmp_gt_i32_e32 vcc_lo, 1, v17
	v_lshrrev_b32_e32 v1, 16, v1
	v_or_b32_e32 v13, 0x1000, v4
	v_or_b32_e32 v12, v21, v12
	v_med3_i32 v15, v15, 0, 13
	v_mul_f64 v[8:9], v[8:9], s[4:5]
	v_cndmask_b32_e32 v12, v19, v12, vcc_lo
	v_lshrrev_b32_e32 v19, v15, v13
	v_and_b32_e32 v20, 7, v12
	v_lshlrev_b32_e32 v10, v15, v19
	v_lshrrev_b32_e32 v12, 2, v12
	v_add_nc_u32_e32 v15, 0xfffffc10, v18
	v_cmp_lt_i32_e32 vcc_lo, 5, v20
	v_cmp_eq_u32_e64 s0, 3, v20
	v_cmp_ne_u32_e64 s1, v10, v13
	v_cvt_f64_f32_e32 v[10:11], v2
	s_or_b32 vcc_lo, s0, vcc_lo
	v_cndmask_b32_e64 v13, 0, 1, s1
	v_add_co_ci_u32_e32 v2, vcc_lo, 0, v12, vcc_lo
	v_cmp_ne_u32_e32 vcc_lo, 0, v0
	v_and_or_b32 v8, 0x1ff, v9, v8
	v_or_b32_e32 v12, v19, v13
	v_lshl_or_b32 v13, v15, 12, v4
	v_lshrrev_b32_e32 v18, 8, v9
	v_cndmask_b32_e64 v0, 0, 1, vcc_lo
	v_cmp_gt_i32_e32 vcc_lo, 1, v15
	v_bfe_u32 v19, v9, 20, 11
	v_lshl_or_b32 v0, v0, 9, 0x7c00
	v_cndmask_b32_e32 v16, v13, v12, vcc_lo
	v_cmp_ne_u32_e32 vcc_lo, 0, v8
	ds_read2_b32 v[12:13], v39 offset0:24 offset1:28
	v_mul_f64 v[10:11], v[10:11], s[4:5]
	v_and_b32_e32 v20, 7, v16
	v_cndmask_b32_e64 v8, 0, 1, vcc_lo
	v_cmp_gt_i32_e32 vcc_lo, 31, v17
	v_cmp_eq_u32_e64 s0, 3, v20
	v_and_or_b32 v8, 0xffe, v18, v8
	v_cndmask_b32_e32 v2, 0x7c00, v2, vcc_lo
	v_cmp_eq_u32_e32 vcc_lo, 0x40f, v17
	v_sub_nc_u32_e32 v18, 0x3f1, v19
	v_cndmask_b32_e32 v0, v2, v0, vcc_lo
	v_cmp_lt_i32_e32 vcc_lo, 5, v20
	v_med3_i32 v17, v18, 0, 13
	v_or_b32_e32 v2, 0x1000, v8
	v_and_or_b32 v18, 0x8000, v1, v0
	v_lshrrev_b32_e32 v0, 2, v16
	s_or_b32 vcc_lo, s0, vcc_lo
	v_lshrrev_b32_e32 v20, v17, v2
	s_waitcnt lgkmcnt(0)
	v_lshrrev_b32_e32 v16, 16, v12
	v_bfe_u32 v22, v11, 20, 11
	v_add_co_ci_u32_e32 v0, vcc_lo, 0, v0, vcc_lo
	v_cmp_ne_u32_e32 vcc_lo, 0, v4
	v_lshlrev_b32_e32 v17, v17, v20
	v_mul_f16_sdwa v1, v35, v16 dst_sel:DWORD dst_unused:UNUSED_PAD src0_sel:WORD_1 src1_sel:DWORD
	v_cndmask_b32_e64 v4, 0, 1, vcc_lo
	v_cmp_gt_i32_e32 vcc_lo, 31, v15
	v_fmac_f16_e32 v1, v35, v12
	v_mul_f16_sdwa v12, v35, v12 dst_sel:DWORD dst_unused:UNUSED_PAD src0_sel:WORD_1 src1_sel:DWORD
	v_lshl_or_b32 v4, v4, 9, 0x7c00
	v_cndmask_b32_e32 v21, 0x7c00, v0, vcc_lo
	v_and_or_b32 v0, 0x1ff, v11, v10
	v_cmp_ne_u32_e32 vcc_lo, v17, v2
	v_cvt_f32_f16_e32 v1, v1
	v_add_nc_u32_e32 v10, 0xfffffc10, v19
	v_lshrrev_b32_e32 v19, 8, v11
	v_lshrrev_b32_e32 v11, 16, v11
	v_cndmask_b32_e64 v2, 0, 1, vcc_lo
	v_cmp_ne_u32_e32 vcc_lo, 0, v0
	v_cvt_f64_f32_e32 v[0:1], v1
	v_or_b32_e32 v2, v20, v2
	v_cndmask_b32_e64 v17, 0, 1, vcc_lo
	v_cmp_eq_u32_e32 vcc_lo, 0x40f, v15
	v_lshrrev_b32_e32 v20, 16, v5
	v_and_or_b32 v17, 0xffe, v19, v17
	v_sub_nc_u32_e32 v19, 0x3f1, v22
	v_cndmask_b32_e32 v15, v21, v4, vcc_lo
	v_lshl_or_b32 v4, v10, 12, v8
	v_cmp_gt_i32_e32 vcc_lo, 1, v10
	v_or_b32_e32 v21, 0x1000, v17
	v_med3_i32 v19, v19, 0, 13
	v_cndmask_b32_e32 v2, v4, v2, vcc_lo
	v_add_co_u32 v4, vcc_lo, v6, s2
	v_add_co_ci_u32_e32 v5, vcc_lo, s3, v7, vcc_lo
	v_lshrrev_b32_e32 v7, v19, v21
	v_and_or_b32 v6, 0x8000, v20, v15
	v_and_b32_e32 v15, 0xffff, v18
	v_and_b32_e32 v18, 7, v2
	v_mul_f64 v[0:1], v[0:1], s[4:5]
	v_lshlrev_b32_e32 v19, v19, v7
	v_lshrrev_b32_e32 v2, 2, v2
	v_lshl_or_b32 v20, v6, 16, v15
	v_fma_f16 v6, v35, v16, -v12
	v_cmp_lt_i32_e32 vcc_lo, 5, v18
	v_cmp_ne_u32_e64 s0, v19, v21
	global_store_dword v[4:5], v14, off
	v_add_nc_u32_e32 v14, 0xfffffc10, v22
	v_cvt_f32_f16_e32 v6, v6
	v_cndmask_b32_e64 v12, 0, 1, s0
	v_cmp_eq_u32_e64 s0, 3, v18
	v_lshl_or_b32 v15, v14, 12, v17
	v_or_b32_e32 v12, v7, v12
	s_or_b32 vcc_lo, s0, vcc_lo
	v_cvt_f64_f32_e32 v[6:7], v6
	v_add_co_ci_u32_e32 v2, vcc_lo, 0, v2, vcc_lo
	v_cmp_ne_u32_e32 vcc_lo, 0, v8
	v_and_or_b32 v0, 0x1ff, v1, v0
	v_lshrrev_b32_e32 v16, 8, v1
	v_bfe_u32 v18, v1, 20, 11
	v_cndmask_b32_e64 v8, 0, 1, vcc_lo
	v_cmp_gt_i32_e32 vcc_lo, 1, v14
	v_lshl_or_b32 v8, v8, 9, 0x7c00
	v_cndmask_b32_e32 v12, v15, v12, vcc_lo
	v_cmp_gt_i32_e32 vcc_lo, 31, v10
	v_and_b32_e32 v15, 7, v12
	v_cndmask_b32_e32 v2, 0x7c00, v2, vcc_lo
	v_cmp_ne_u32_e32 vcc_lo, 0, v0
	v_mul_f64 v[6:7], v[6:7], s[4:5]
	v_cmp_eq_u32_e64 s0, 3, v15
	v_cndmask_b32_e64 v0, 0, 1, vcc_lo
	v_cmp_eq_u32_e32 vcc_lo, 0x40f, v10
	v_lshrrev_b32_e32 v10, 2, v12
	v_and_or_b32 v0, 0xffe, v16, v0
	v_cndmask_b32_e32 v2, v2, v8, vcc_lo
	v_cmp_lt_i32_e32 vcc_lo, 5, v15
	v_lshrrev_b32_e32 v8, 16, v9
	v_sub_nc_u32_e32 v9, 0x3f1, v18
	v_or_b32_e32 v12, 0x1000, v0
	v_lshrrev_b32_e32 v15, 16, v13
	s_or_b32 vcc_lo, s0, vcc_lo
	v_and_or_b32 v2, 0x8000, v8, v2
	v_add_co_ci_u32_e32 v10, vcc_lo, 0, v10, vcc_lo
	v_med3_i32 v9, v9, 0, 13
	v_cmp_ne_u32_e32 vcc_lo, 0, v17
	v_mul_f16_sdwa v19, v34, v15 dst_sel:DWORD dst_unused:UNUSED_PAD src0_sel:WORD_1 src1_sel:DWORD
	v_and_or_b32 v6, 0x1ff, v7, v6
	v_and_b32_e32 v2, 0xffff, v2
	v_lshrrev_b32_e32 v17, v9, v12
	v_cndmask_b32_e64 v16, 0, 1, vcc_lo
	v_cmp_gt_i32_e32 vcc_lo, 31, v14
	v_fmac_f16_e32 v19, v34, v13
	v_mul_f16_sdwa v13, v34, v13 dst_sel:DWORD dst_unused:UNUSED_PAD src0_sel:WORD_1 src1_sel:DWORD
	v_lshlrev_b32_e32 v8, v9, v17
	v_lshl_or_b32 v16, v16, 9, 0x7c00
	v_cndmask_b32_e32 v10, 0x7c00, v10, vcc_lo
	v_cmp_eq_u32_e32 vcc_lo, 0x40f, v14
	v_cvt_f32_f16_e32 v9, v19
	v_lshrrev_b32_e32 v14, 8, v7
	v_fma_f16 v13, v34, v15, -v13
	v_cndmask_b32_e32 v10, v10, v16, vcc_lo
	v_cmp_ne_u32_e32 vcc_lo, v8, v12
	v_cvt_f64_f32_e32 v[8:9], v9
	v_add_nc_u32_e32 v16, 0xfffffc10, v18
	v_bfe_u32 v18, v7, 20, 11
	v_and_or_b32 v10, 0x8000, v11, v10
	v_cndmask_b32_e64 v12, 0, 1, vcc_lo
	v_cmp_ne_u32_e32 vcc_lo, 0, v6
	v_cvt_f32_f16_e32 v13, v13
	v_lshl_or_b32 v2, v10, 16, v2
	v_or_b32_e32 v11, v17, v12
	v_cndmask_b32_e64 v6, 0, 1, vcc_lo
	v_lshl_or_b32 v12, v16, 12, v0
	v_cmp_gt_i32_e32 vcc_lo, 1, v16
	v_and_or_b32 v6, 0xffe, v14, v6
	v_sub_nc_u32_e32 v14, 0x3f1, v18
	v_cndmask_b32_e32 v12, v12, v11, vcc_lo
	v_add_co_u32 v4, vcc_lo, v4, s2
	v_or_b32_e32 v17, 0x1000, v6
	v_med3_i32 v14, v14, 0, 13
	v_add_co_ci_u32_e32 v5, vcc_lo, s3, v5, vcc_lo
	v_and_b32_e32 v19, 7, v12
	v_mul_f64 v[8:9], v[8:9], s[4:5]
	v_lshrrev_b32_e32 v21, v14, v17
	v_add_co_u32 v10, vcc_lo, v4, s2
	v_add_co_ci_u32_e32 v11, vcc_lo, s3, v5, vcc_lo
	v_lshlrev_b32_e32 v14, v14, v21
	v_cmp_lt_i32_e32 vcc_lo, 5, v19
	v_cmp_eq_u32_e64 s0, 3, v19
	v_lshrrev_b32_e32 v12, 2, v12
	v_cmp_ne_u32_e64 s1, v14, v17
	v_add_nc_u32_e32 v17, 0xfffffc10, v18
	s_or_b32 vcc_lo, s0, vcc_lo
	v_add_co_ci_u32_e32 v18, vcc_lo, 0, v12, vcc_lo
	v_cndmask_b32_e64 v14, 0, 1, s1
	v_cmp_ne_u32_e32 vcc_lo, 0, v0
	v_cvt_f64_f32_e32 v[12:13], v13
	v_or_b32_e32 v19, v21, v14
	v_lshl_or_b32 v21, v17, 12, v6
	v_cndmask_b32_e64 v0, 0, 1, vcc_lo
	v_cmp_gt_i32_e32 vcc_lo, 1, v17
	v_and_or_b32 v8, 0x1ff, v9, v8
	ds_read2_b32 v[14:15], v39 offset0:32 offset1:36
	v_lshrrev_b32_e32 v22, 8, v9
	v_lshl_or_b32 v0, v0, 9, 0x7c00
	v_cndmask_b32_e32 v19, v21, v19, vcc_lo
	v_cmp_gt_i32_e32 vcc_lo, 31, v16
	v_bfe_u32 v23, v9, 20, 11
	global_store_dword v[4:5], v20, off
	global_store_dword v[10:11], v2, off
	v_and_b32_e32 v21, 7, v19
	v_cndmask_b32_e32 v18, 0x7c00, v18, vcc_lo
	v_cmp_ne_u32_e32 vcc_lo, 0, v8
	v_cmp_eq_u32_e64 s0, 3, v21
	v_cndmask_b32_e64 v8, 0, 1, vcc_lo
	v_cmp_eq_u32_e32 vcc_lo, 0x40f, v16
	v_and_or_b32 v8, 0xffe, v22, v8
	v_cndmask_b32_e32 v16, v18, v0, vcc_lo
	v_cmp_lt_i32_e32 vcc_lo, 5, v21
	v_lshrrev_b32_e32 v18, 16, v1
	v_mul_f64 v[0:1], v[12:13], s[4:5]
	v_lshrrev_b32_e32 v13, 2, v19
	v_sub_nc_u32_e32 v22, 0x3f1, v23
	s_or_b32 vcc_lo, s0, vcc_lo
	v_or_b32_e32 v19, 0x1000, v8
	s_waitcnt lgkmcnt(0)
	v_lshrrev_b32_e32 v12, 16, v14
	v_add_co_ci_u32_e32 v13, vcc_lo, 0, v13, vcc_lo
	v_med3_i32 v21, v22, 0, 13
	v_cmp_ne_u32_e32 vcc_lo, 0, v6
	v_mul_f16_sdwa v22, v33, v12 dst_sel:DWORD dst_unused:UNUSED_PAD src0_sel:WORD_1 src1_sel:DWORD
	v_and_or_b32 v16, 0x8000, v18, v16
	v_lshrrev_b32_e32 v24, v21, v19
	v_cndmask_b32_e64 v6, 0, 1, vcc_lo
	v_cmp_gt_i32_e32 vcc_lo, 31, v17
	v_fmac_f16_e32 v22, v33, v14
	v_and_b32_e32 v16, 0xffff, v16
	v_lshlrev_b32_e32 v18, v21, v24
	v_lshl_or_b32 v6, v6, 9, 0x7c00
	v_cndmask_b32_e32 v13, 0x7c00, v13, vcc_lo
	v_cmp_eq_u32_e32 vcc_lo, 0x40f, v17
	v_and_or_b32 v0, 0x1ff, v1, v0
	v_cvt_f32_f16_e32 v21, v22
	v_lshrrev_b32_e32 v17, 16, v7
	v_bfe_u32 v22, v1, 20, 11
	v_cndmask_b32_e32 v13, v13, v6, vcc_lo
	v_cmp_ne_u32_e32 vcc_lo, v18, v19
	v_cvt_f64_f32_e32 v[6:7], v21
	v_add_nc_u32_e32 v19, 0xfffffc10, v23
	v_lshrrev_b32_e32 v21, 8, v1
	v_and_or_b32 v13, 0x8000, v17, v13
	v_cndmask_b32_e64 v18, 0, 1, vcc_lo
	v_cmp_ne_u32_e32 vcc_lo, 0, v0
	v_lshl_or_b32 v2, v13, 16, v16
	v_or_b32_e32 v17, v24, v18
	v_cndmask_b32_e64 v0, 0, 1, vcc_lo
	v_lshl_or_b32 v18, v19, 12, v8
	v_cmp_gt_i32_e32 vcc_lo, 1, v19
	v_and_or_b32 v0, 0xffe, v21, v0
	v_sub_nc_u32_e32 v21, 0x3f1, v22
	v_cndmask_b32_e32 v17, v18, v17, vcc_lo
	v_or_b32_e32 v18, 0x1000, v0
	v_med3_i32 v21, v21, 0, 13
	v_and_b32_e32 v13, 7, v17
	v_mul_f64 v[4:5], v[6:7], s[4:5]
	v_add_co_u32 v6, vcc_lo, v10, s2
	v_lshrrev_b32_e32 v16, v21, v18
	v_add_co_ci_u32_e32 v7, vcc_lo, s3, v11, vcc_lo
	v_cmp_lt_i32_e32 vcc_lo, 5, v13
	v_cmp_eq_u32_e64 s0, 3, v13
	v_lshlrev_b32_e32 v10, v21, v16
	v_mul_f16_sdwa v11, v33, v14 dst_sel:DWORD dst_unused:UNUSED_PAD src0_sel:WORD_1 src1_sel:DWORD
	v_lshrrev_b32_e32 v13, 2, v17
	global_store_dword v[6:7], v2, off
	s_or_b32 vcc_lo, s0, vcc_lo
	v_cmp_ne_u32_e64 s1, v10, v18
	v_fma_f16 v11, v33, v12, -v11
	v_add_co_ci_u32_e32 v13, vcc_lo, 0, v13, vcc_lo
	v_add_nc_u32_e32 v12, 0xfffffc10, v22
	v_cndmask_b32_e64 v10, 0, 1, s1
	v_cmp_ne_u32_e32 vcc_lo, 0, v8
	v_cvt_f32_f16_e32 v11, v11
	v_and_or_b32 v4, 0x1ff, v5, v4
	v_or_b32_e32 v14, v16, v10
	v_lshl_or_b32 v16, v12, 12, v0
	v_cndmask_b32_e64 v8, 0, 1, vcc_lo
	v_cmp_gt_i32_e32 vcc_lo, 1, v12
	v_cvt_f64_f32_e32 v[10:11], v11
	v_bfe_u32 v18, v5, 20, 11
	v_lshrrev_b32_e32 v17, 8, v5
	v_lshl_or_b32 v8, v8, 9, 0x7c00
	v_cndmask_b32_e32 v14, v16, v14, vcc_lo
	v_cmp_gt_i32_e32 vcc_lo, 31, v19
	v_and_b32_e32 v16, 7, v14
	v_cndmask_b32_e32 v13, 0x7c00, v13, vcc_lo
	v_cmp_ne_u32_e32 vcc_lo, 0, v4
	v_lshrrev_b32_e32 v14, 2, v14
	v_cmp_eq_u32_e64 s0, 3, v16
	v_cndmask_b32_e64 v4, 0, 1, vcc_lo
	v_cmp_eq_u32_e32 vcc_lo, 0x40f, v19
	v_lshrrev_b32_e32 v19, 16, v9
	v_and_or_b32 v4, 0xffe, v17, v4
	v_cndmask_b32_e32 v13, v13, v8, vcc_lo
	v_sub_nc_u32_e32 v8, 0x3f1, v18
	v_cmp_lt_i32_e32 vcc_lo, 5, v16
	v_or_b32_e32 v16, 0x1000, v4
	v_and_or_b32 v13, 0x8000, v19, v13
	v_med3_i32 v17, v8, 0, 13
	v_mul_f64 v[8:9], v[10:11], s[4:5]
	s_or_b32 vcc_lo, s0, vcc_lo
	v_lshrrev_b32_e32 v10, 16, v15
	v_add_co_ci_u32_e32 v11, vcc_lo, 0, v14, vcc_lo
	v_cmp_ne_u32_e32 vcc_lo, 0, v0
	v_lshrrev_b32_e32 v14, v17, v16
	v_mul_f16_sdwa v20, v32, v10 dst_sel:DWORD dst_unused:UNUSED_PAD src0_sel:WORD_1 src1_sel:DWORD
	v_and_b32_e32 v13, 0xffff, v13
	v_cndmask_b32_e64 v0, 0, 1, vcc_lo
	v_cmp_gt_i32_e32 vcc_lo, 31, v12
	v_lshlrev_b32_e32 v17, v17, v14
	v_fmac_f16_e32 v20, v32, v15
	v_mul_f16_sdwa v15, v32, v15 dst_sel:DWORD dst_unused:UNUSED_PAD src0_sel:WORD_1 src1_sel:DWORD
	v_lshl_or_b32 v0, v0, 9, 0x7c00
	v_cndmask_b32_e32 v11, 0x7c00, v11, vcc_lo
	v_cmp_eq_u32_e32 vcc_lo, 0x40f, v12
	v_lshrrev_b32_e32 v12, 16, v1
	v_fma_f16 v10, v32, v10, -v15
	v_cndmask_b32_e32 v11, v11, v0, vcc_lo
	v_cmp_ne_u32_e32 vcc_lo, v17, v16
	v_and_or_b32 v8, 0x1ff, v9, v8
	v_cvt_f32_f16_e32 v0, v20
	v_add_nc_u32_e32 v17, 0xfffffc10, v18
	v_and_or_b32 v11, 0x8000, v12, v11
	v_cndmask_b32_e64 v16, 0, 1, vcc_lo
	v_cmp_ne_u32_e32 vcc_lo, 0, v8
	v_cvt_f64_f32_e32 v[0:1], v0
	v_bfe_u32 v18, v9, 20, 11
	v_lshl_or_b32 v2, v11, 16, v13
	v_or_b32_e32 v12, v14, v16
	v_lshl_or_b32 v14, v17, 12, v4
	v_cndmask_b32_e64 v8, 0, 1, vcc_lo
	v_lshrrev_b32_e32 v16, 8, v9
	v_cmp_gt_i32_e32 vcc_lo, 1, v17
	v_add_nc_u32_e32 v15, 0xfffffc10, v18
	v_lshrrev_b32_e32 v9, 16, v9
	v_and_or_b32 v8, 0xffe, v16, v8
	v_cndmask_b32_e32 v12, v14, v12, vcc_lo
	v_sub_nc_u32_e32 v14, 0x3f1, v18
	v_add_co_u32 v6, vcc_lo, v6, s2
	v_or_b32_e32 v13, 0x1000, v8
	v_and_b32_e32 v11, 7, v12
	v_med3_i32 v14, v14, 0, 13
	v_add_co_ci_u32_e32 v7, vcc_lo, s3, v7, vcc_lo
	v_cmp_lt_i32_e32 vcc_lo, 5, v11
	v_lshrrev_b32_e32 v16, v14, v13
	v_cmp_eq_u32_e64 s0, 3, v11
	v_mul_f64 v[0:1], v[0:1], s[4:5]
	global_store_dword v[6:7], v2, off
	v_lshrrev_b32_e32 v2, 2, v12
	v_lshlrev_b32_e32 v11, v14, v16
	s_or_b32 vcc_lo, s0, vcc_lo
	v_cvt_f32_f16_e32 v12, v10
	v_add_co_u32 v6, s1, v6, s2
	v_add_co_ci_u32_e32 v2, vcc_lo, 0, v2, vcc_lo
	v_cmp_ne_u32_e32 vcc_lo, v11, v13
	ds_read2_b32 v[10:11], v39 offset0:40 offset1:44
	v_cvt_f64_f32_e32 v[12:13], v12
	v_add_co_ci_u32_e64 v7, s1, s3, v7, s1
	v_cndmask_b32_e64 v14, 0, 1, vcc_lo
	v_cmp_ne_u32_e32 vcc_lo, 0, v4
	v_or_b32_e32 v14, v16, v14
	v_cndmask_b32_e64 v4, 0, 1, vcc_lo
	v_cmp_gt_i32_e32 vcc_lo, 31, v17
	v_lshl_or_b32 v16, v15, 12, v8
	v_and_or_b32 v0, 0x1ff, v1, v0
	v_bfe_u32 v18, v1, 20, 11
	v_lshl_or_b32 v4, v4, 9, 0x7c00
	v_cndmask_b32_e32 v2, 0x7c00, v2, vcc_lo
	v_cmp_gt_i32_e32 vcc_lo, 1, v15
	v_sub_nc_u32_e32 v19, 0x3f1, v18
	s_waitcnt lgkmcnt(0)
	v_lshrrev_b32_e32 v20, 16, v10
	v_add_nc_u32_e32 v18, 0xfffffc10, v18
	v_cndmask_b32_e32 v14, v16, v14, vcc_lo
	v_cmp_ne_u32_e32 vcc_lo, 0, v0
	v_lshrrev_b32_e32 v16, 8, v1
	v_lshrrev_b32_e32 v1, 16, v1
	v_cndmask_b32_e64 v0, 0, 1, vcc_lo
	v_cmp_eq_u32_e32 vcc_lo, 0x40f, v17
	v_and_b32_e32 v17, 7, v14
	v_lshrrev_b32_e32 v14, 2, v14
	v_and_or_b32 v0, 0xffe, v16, v0
	v_cndmask_b32_e32 v2, v2, v4, vcc_lo
	v_cmp_lt_i32_e32 vcc_lo, 5, v17
	v_cmp_eq_u32_e64 s0, 3, v17
	v_lshrrev_b32_e32 v16, 16, v5
	v_mul_f64 v[4:5], v[12:13], s[4:5]
	v_or_b32_e32 v21, 0x1000, v0
	v_med3_i32 v12, v19, 0, 13
	v_mul_f16_sdwa v13, v31, v20 dst_sel:DWORD dst_unused:UNUSED_PAD src0_sel:WORD_1 src1_sel:DWORD
	s_or_b32 vcc_lo, s0, vcc_lo
	v_and_or_b32 v2, 0x8000, v16, v2
	v_add_co_ci_u32_e32 v14, vcc_lo, 0, v14, vcc_lo
	v_lshrrev_b32_e32 v16, v12, v21
	v_cmp_ne_u32_e32 vcc_lo, 0, v8
	v_fmac_f16_e32 v13, v31, v10
	v_and_b32_e32 v2, 0xffff, v2
	v_mul_f16_sdwa v10, v31, v10 dst_sel:DWORD dst_unused:UNUSED_PAD src0_sel:WORD_1 src1_sel:DWORD
	v_lshlrev_b32_e32 v17, v12, v16
	v_cndmask_b32_e64 v8, 0, 1, vcc_lo
	v_cmp_gt_i32_e32 vcc_lo, 31, v15
	v_cvt_f32_f16_e32 v13, v13
	v_fma_f16 v10, v31, v20, -v10
	v_lshl_or_b32 v8, v8, 9, 0x7c00
	v_cndmask_b32_e32 v14, 0x7c00, v14, vcc_lo
	v_cmp_ne_u32_e32 vcc_lo, v17, v21
	v_cvt_f64_f32_e32 v[12:13], v13
	v_and_or_b32 v4, 0x1ff, v5, v4
	v_cvt_f32_f16_e32 v10, v10
	v_cndmask_b32_e64 v17, 0, 1, vcc_lo
	v_cmp_eq_u32_e32 vcc_lo, 0x40f, v15
	v_lshl_or_b32 v15, v18, 12, v0
	v_cndmask_b32_e32 v8, v14, v8, vcc_lo
	v_cmp_ne_u32_e32 vcc_lo, 0, v4
	v_or_b32_e32 v14, v16, v17
	v_lshrrev_b32_e32 v16, 8, v5
	v_bfe_u32 v17, v5, 20, 11
	v_lshrrev_b32_e32 v5, 16, v5
	v_cndmask_b32_e64 v4, 0, 1, vcc_lo
	v_cmp_gt_i32_e32 vcc_lo, 1, v18
	v_and_or_b32 v4, 0xffe, v16, v4
	v_sub_nc_u32_e32 v16, 0x3f1, v17
	v_cndmask_b32_e32 v14, v15, v14, vcc_lo
	v_and_or_b32 v15, 0x8000, v9, v8
	v_mul_f64 v[8:9], v[12:13], s[4:5]
	v_or_b32_e32 v21, 0x1000, v4
	v_med3_i32 v12, v16, 0, 13
	v_and_b32_e32 v19, 7, v14
	v_lshl_or_b32 v15, v15, 16, v2
	v_lshrrev_b32_e32 v13, 2, v14
	v_lshrrev_b32_e32 v2, v12, v21
	v_cmp_lt_i32_e32 vcc_lo, 5, v19
	v_cmp_eq_u32_e64 s0, 3, v19
	v_lshlrev_b32_e32 v12, v12, v2
	s_or_b32 vcc_lo, s0, vcc_lo
	v_add_co_ci_u32_e32 v14, vcc_lo, 0, v13, vcc_lo
	v_cmp_ne_u32_e32 vcc_lo, v12, v21
	v_cvt_f64_f32_e32 v[12:13], v10
	v_add_nc_u32_e32 v10, 0xfffffc10, v17
	v_and_or_b32 v8, 0x1ff, v9, v8
	v_cndmask_b32_e64 v16, 0, 1, vcc_lo
	v_cmp_gt_i32_e32 vcc_lo, 31, v18
	v_lshrrev_b32_e32 v17, 8, v9
	v_bfe_u32 v19, v9, 20, 11
	v_or_b32_e32 v2, v2, v16
	v_cndmask_b32_e32 v14, 0x7c00, v14, vcc_lo
	v_cmp_ne_u32_e32 vcc_lo, 0, v8
	v_lshl_or_b32 v16, v10, 12, v4
	v_cndmask_b32_e64 v8, 0, 1, vcc_lo
	v_cmp_ne_u32_e32 vcc_lo, 0, v0
	v_and_or_b32 v8, 0xffe, v17, v8
	v_cndmask_b32_e64 v0, 0, 1, vcc_lo
	v_cmp_gt_i32_e32 vcc_lo, 1, v10
	v_lshrrev_b32_e32 v17, 16, v11
	v_mul_f64 v[12:13], v[12:13], s[4:5]
	v_or_b32_e32 v21, 0x1000, v8
	v_lshl_or_b32 v0, v0, 9, 0x7c00
	v_cndmask_b32_e32 v2, v16, v2, vcc_lo
	v_sub_nc_u32_e32 v16, 0x3f1, v19
	v_cmp_eq_u32_e32 vcc_lo, 0x40f, v18
	v_mul_f16_sdwa v22, v30, v17 dst_sel:DWORD dst_unused:UNUSED_PAD src0_sel:WORD_1 src1_sel:DWORD
	v_add_nc_u32_e32 v19, 0xfffffc10, v19
	v_and_b32_e32 v20, 7, v2
	v_med3_i32 v16, v16, 0, 13
	v_cndmask_b32_e32 v0, v14, v0, vcc_lo
	v_fmac_f16_e32 v22, v30, v11
	v_cmp_lt_i32_e32 vcc_lo, 5, v20
	v_lshrrev_b32_e32 v14, v16, v21
	v_cmp_eq_u32_e64 s0, 3, v20
	v_and_or_b32 v18, 0x8000, v1, v0
	v_lshrrev_b32_e32 v0, 2, v2
	v_cvt_f32_f16_e32 v2, v22
	v_lshlrev_b32_e32 v1, v16, v14
	s_or_b32 vcc_lo, s0, vcc_lo
	v_add_co_ci_u32_e32 v16, vcc_lo, 0, v0, vcc_lo
	v_cmp_ne_u32_e32 vcc_lo, v1, v21
	v_cvt_f64_f32_e32 v[0:1], v2
	v_and_or_b32 v12, 0x1ff, v13, v12
	v_cndmask_b32_e64 v20, 0, 1, vcc_lo
	v_cmp_ne_u32_e32 vcc_lo, 0, v4
	v_or_b32_e32 v4, v14, v20
	v_cndmask_b32_e64 v2, 0, 1, vcc_lo
	v_cmp_gt_i32_e32 vcc_lo, 31, v10
	v_lshl_or_b32 v14, v19, 12, v8
	v_bfe_u32 v20, v13, 20, 11
	v_lshl_or_b32 v2, v2, 9, 0x7c00
	v_cndmask_b32_e32 v16, 0x7c00, v16, vcc_lo
	v_cmp_gt_i32_e32 vcc_lo, 1, v19
	v_cndmask_b32_e32 v4, v14, v4, vcc_lo
	v_cmp_ne_u32_e32 vcc_lo, 0, v12
	v_lshrrev_b32_e32 v14, 8, v13
	v_mul_f64 v[0:1], v[0:1], s[4:5]
	v_lshrrev_b32_e32 v13, 16, v13
	v_and_b32_e32 v21, 7, v4
	v_cndmask_b32_e64 v12, 0, 1, vcc_lo
	v_cmp_eq_u32_e32 vcc_lo, 0x40f, v10
	v_sub_nc_u32_e32 v10, 0x3f1, v20
	v_lshrrev_b32_e32 v4, 2, v4
	v_cmp_eq_u32_e64 s0, 3, v21
	v_and_or_b32 v12, 0xffe, v14, v12
	v_cndmask_b32_e32 v2, v16, v2, vcc_lo
	v_cmp_lt_i32_e32 vcc_lo, 5, v21
	v_med3_i32 v10, v10, 0, 13
	v_or_b32_e32 v14, 0x1000, v12
	v_and_or_b32 v2, 0x8000, v5, v2
	s_or_b32 vcc_lo, s0, vcc_lo
	v_and_b32_e32 v5, 0xffff, v18
	v_add_co_ci_u32_e32 v4, vcc_lo, 0, v4, vcc_lo
	v_lshrrev_b32_e32 v16, v10, v14
	v_cmp_ne_u32_e32 vcc_lo, 0, v8
	v_lshl_or_b32 v18, v2, 16, v5
	v_and_or_b32 v0, 0x1ff, v1, v0
	v_lshlrev_b32_e32 v2, v10, v16
	v_cndmask_b32_e64 v8, 0, 1, vcc_lo
	v_cmp_gt_i32_e32 vcc_lo, 31, v19
	v_lshl_or_b32 v5, v8, 9, 0x7c00
	v_cndmask_b32_e32 v4, 0x7c00, v4, vcc_lo
	v_cmp_ne_u32_e32 vcc_lo, v2, v14
	v_mul_f16_sdwa v8, v30, v11 dst_sel:DWORD dst_unused:UNUSED_PAD src0_sel:WORD_1 src1_sel:DWORD
	v_add_nc_u32_e32 v14, 0xfffffc10, v20
	v_cndmask_b32_e64 v2, 0, 1, vcc_lo
	v_cmp_eq_u32_e32 vcc_lo, 0x40f, v19
	v_fma_f16 v8, v30, v17, -v8
	v_lshl_or_b32 v11, v14, 12, v12
	v_lshrrev_b32_e32 v17, 16, v3
	v_or_b32_e32 v2, v16, v2
	v_cndmask_b32_e32 v10, v4, v5, vcc_lo
	v_cmp_ne_u32_e32 vcc_lo, 0, v0
	v_cvt_f32_f16_e32 v4, v8
	v_lshrrev_b32_e32 v8, 8, v1
	v_bfe_u32 v16, v1, 20, 11
	v_mul_f16_sdwa v22, v29, v17 dst_sel:DWORD dst_unused:UNUSED_PAD src0_sel:WORD_1 src1_sel:DWORD
	v_cndmask_b32_e64 v0, 0, 1, vcc_lo
	v_cvt_f64_f32_e32 v[4:5], v4
	v_cmp_gt_i32_e32 vcc_lo, 1, v14
	v_lshrrev_b32_e32 v1, 16, v1
	v_fmac_f16_e32 v22, v29, v3
	v_and_or_b32 v0, 0xffe, v8, v0
	v_sub_nc_u32_e32 v8, 0x3f1, v16
	v_cndmask_b32_e32 v2, v11, v2, vcc_lo
	v_lshrrev_b32_e32 v11, 16, v9
	v_add_nc_u32_e32 v16, 0xfffffc10, v16
	v_or_b32_e32 v20, 0x1000, v0
	v_med3_i32 v21, v8, 0, 13
	v_and_b32_e32 v19, 7, v2
	v_add_co_u32 v8, vcc_lo, v6, s2
	v_add_co_ci_u32_e32 v9, vcc_lo, s3, v7, vcc_lo
	v_lshrrev_b32_e32 v24, v21, v20
	v_cmp_lt_i32_e32 vcc_lo, 5, v19
	v_cmp_eq_u32_e64 s0, 3, v19
	v_lshrrev_b32_e32 v2, 2, v2
	v_and_or_b32 v23, 0x8000, v11, v10
	v_lshlrev_b32_e32 v19, v21, v24
	v_cvt_f32_f16_e32 v10, v22
	s_or_b32 vcc_lo, s0, vcc_lo
	v_mul_f64 v[4:5], v[4:5], s[4:5]
	v_add_co_ci_u32_e32 v2, vcc_lo, 0, v2, vcc_lo
	v_cmp_ne_u32_e32 vcc_lo, v19, v20
	v_cvt_f64_f32_e32 v[10:11], v10
	v_mul_f16_sdwa v3, v29, v3 dst_sel:DWORD dst_unused:UNUSED_PAD src0_sel:WORD_1 src1_sel:DWORD
	v_lshl_or_b32 v20, v16, 12, v0
	v_cndmask_b32_e64 v19, 0, 1, vcc_lo
	v_cmp_ne_u32_e32 vcc_lo, 0, v12
	v_fma_f16 v3, v29, v17, -v3
	v_or_b32_e32 v19, v24, v19
	v_cndmask_b32_e64 v12, 0, 1, vcc_lo
	v_cmp_gt_i32_e32 vcc_lo, 31, v14
	v_cvt_f32_f16_e32 v3, v3
	v_lshl_or_b32 v12, v12, 9, 0x7c00
	v_cndmask_b32_e32 v2, 0x7c00, v2, vcc_lo
	v_cmp_gt_i32_e32 vcc_lo, 1, v16
	v_and_or_b32 v4, 0x1ff, v5, v4
	v_cndmask_b32_e32 v17, v20, v19, vcc_lo
	v_cmp_eq_u32_e32 vcc_lo, 0x40f, v14
	v_mul_f64 v[10:11], v[10:11], s[4:5]
	v_lshrrev_b32_e32 v19, 8, v5
	v_bfe_u32 v20, v5, 20, 11
	v_and_b32_e32 v14, 7, v17
	v_cndmask_b32_e32 v12, v2, v12, vcc_lo
	v_cvt_f64_f32_e32 v[2:3], v3
	v_cmp_ne_u32_e32 vcc_lo, 0, v4
	v_lshrrev_b32_e32 v5, 16, v5
	v_cmp_eq_u32_e64 s0, 3, v14
	v_and_or_b32 v12, 0x8000, v13, v12
	v_and_b32_e32 v13, 0xffff, v23
	v_cndmask_b32_e64 v4, 0, 1, vcc_lo
	v_cmp_lt_i32_e32 vcc_lo, 5, v14
	v_lshl_or_b32 v12, v12, 16, v13
	v_lshrrev_b32_e32 v13, 2, v17
	v_and_or_b32 v4, 0xffe, v19, v4
	v_sub_nc_u32_e32 v19, 0x3f1, v20
	s_or_b32 vcc_lo, s0, vcc_lo
	v_add_co_ci_u32_e32 v13, vcc_lo, 0, v13, vcc_lo
	v_or_b32_e32 v14, 0x1000, v4
	v_med3_i32 v17, v19, 0, 13
	v_cmp_ne_u32_e32 vcc_lo, 0, v0
	v_and_or_b32 v10, 0x1ff, v11, v10
	v_mul_f64 v[2:3], v[2:3], s[4:5]
	v_lshrrev_b32_e32 v21, 8, v11
	v_lshrrev_b32_e32 v19, v17, v14
	v_cndmask_b32_e64 v0, 0, 1, vcc_lo
	v_cmp_gt_i32_e32 vcc_lo, 31, v16
	v_bfe_u32 v22, v11, 20, 11
	v_lshrrev_b32_e32 v11, 16, v11
	v_lshlrev_b32_e32 v17, v17, v19
	v_lshl_or_b32 v0, v0, 9, 0x7c00
	v_cndmask_b32_e32 v13, 0x7c00, v13, vcc_lo
	v_cmp_ne_u32_e32 vcc_lo, 0, v10
	v_cndmask_b32_e64 v10, 0, 1, vcc_lo
	v_cmp_ne_u32_e32 vcc_lo, v17, v14
	v_add_nc_u32_e32 v17, 0xfffffc10, v20
	v_sub_nc_u32_e32 v20, 0x3f1, v22
	v_and_or_b32 v10, 0xffe, v21, v10
	v_cndmask_b32_e64 v14, 0, 1, vcc_lo
	v_cmp_eq_u32_e32 vcc_lo, 0x40f, v16
	v_and_or_b32 v2, 0x1ff, v3, v2
	v_bfe_u32 v21, v3, 20, 11
	v_or_b32_e32 v16, 0x1000, v10
	v_cndmask_b32_e32 v0, v13, v0, vcc_lo
	v_or_b32_e32 v13, v19, v14
	v_lshl_or_b32 v14, v17, 12, v4
	v_med3_i32 v19, v20, 0, 13
	v_cmp_gt_i32_e32 vcc_lo, 1, v17
	v_lshrrev_b32_e32 v20, 8, v3
	v_and_or_b32 v0, 0x8000, v1, v0
	v_lshrrev_b32_e32 v3, 16, v3
	v_cndmask_b32_e32 v13, v14, v13, vcc_lo
	v_lshrrev_b32_e32 v14, v19, v16
	v_cmp_ne_u32_e32 vcc_lo, 0, v2
	v_and_b32_e32 v23, 7, v13
	v_lshlrev_b32_e32 v19, v19, v14
	v_cndmask_b32_e64 v2, 0, 1, vcc_lo
	v_lshrrev_b32_e32 v13, 2, v13
	v_cmp_lt_i32_e32 vcc_lo, 5, v23
	v_cmp_ne_u32_e64 s0, v19, v16
	v_and_or_b32 v1, 0xffe, v20, v2
	v_sub_nc_u32_e32 v2, 0x3f1, v21
	v_add_nc_u32_e32 v20, 0xfffffc10, v22
	v_cndmask_b32_e64 v16, 0, 1, s0
	v_cmp_eq_u32_e64 s0, 3, v23
	v_or_b32_e32 v19, 0x1000, v1
	v_med3_i32 v2, v2, 0, 13
	v_lshl_or_b32 v22, v20, 12, v10
	v_or_b32_e32 v14, v14, v16
	s_or_b32 vcc_lo, s0, vcc_lo
	v_add_co_ci_u32_e32 v13, vcc_lo, 0, v13, vcc_lo
	v_lshrrev_b32_e32 v16, v2, v19
	v_cmp_gt_i32_e32 vcc_lo, 1, v20
	v_lshlrev_b32_e32 v2, v2, v16
	v_cndmask_b32_e32 v14, v22, v14, vcc_lo
	v_cmp_ne_u32_e32 vcc_lo, 0, v4
	v_cndmask_b32_e64 v4, 0, 1, vcc_lo
	v_cmp_ne_u32_e32 vcc_lo, v2, v19
	v_add_nc_u32_e32 v19, 0xfffffc10, v21
	v_and_b32_e32 v21, 7, v14
	v_lshl_or_b32 v4, v4, 9, 0x7c00
	v_cndmask_b32_e64 v2, 0, 1, vcc_lo
	v_cmp_gt_i32_e32 vcc_lo, 31, v17
	v_cmp_gt_i32_e64 s1, 1, v19
	v_cmp_eq_u32_e64 s0, 3, v21
	v_or_b32_e32 v2, v16, v2
	v_lshl_or_b32 v16, v19, 12, v1
	v_cndmask_b32_e32 v13, 0x7c00, v13, vcc_lo
	v_cmp_lt_i32_e32 vcc_lo, 5, v21
	v_cndmask_b32_e64 v2, v16, v2, s1
	v_cmp_eq_u32_e64 s1, 0x40f, v17
	s_or_b32 vcc_lo, s0, vcc_lo
	v_cndmask_b32_e64 v4, v13, v4, s1
	v_lshrrev_b32_e32 v13, 2, v14
	v_and_b32_e32 v14, 7, v2
	v_lshrrev_b32_e32 v2, 2, v2
	v_cmp_gt_i32_e64 s1, 31, v20
	v_and_or_b32 v4, 0x8000, v5, v4
	v_add_co_ci_u32_e32 v13, vcc_lo, 0, v13, vcc_lo
	v_cmp_ne_u32_e32 vcc_lo, 0, v10
	v_cmp_eq_u32_e64 s0, 3, v14
	v_and_b32_e32 v5, 0xffff, v0
	v_cndmask_b32_e64 v13, 0x7c00, v13, s1
	v_cndmask_b32_e64 v10, 0, 1, vcc_lo
	v_cmp_lt_i32_e32 vcc_lo, 5, v14
	v_lshl_or_b32 v10, v10, 9, 0x7c00
	s_or_b32 vcc_lo, s0, vcc_lo
	v_add_co_ci_u32_e32 v2, vcc_lo, 0, v2, vcc_lo
	v_cmp_ne_u32_e32 vcc_lo, 0, v1
	v_cndmask_b32_e64 v1, 0, 1, vcc_lo
	v_cmp_eq_u32_e32 vcc_lo, 0x40f, v20
	v_lshl_or_b32 v1, v1, 9, 0x7c00
	v_cndmask_b32_e32 v10, v13, v10, vcc_lo
	v_cmp_gt_i32_e32 vcc_lo, 31, v19
	v_and_or_b32 v10, 0x8000, v11, v10
	v_cndmask_b32_e32 v2, 0x7c00, v2, vcc_lo
	v_cmp_eq_u32_e32 vcc_lo, 0x40f, v19
	v_lshl_or_b32 v11, v4, 16, v5
	v_and_b32_e32 v5, 0xffff, v10
	v_cndmask_b32_e32 v2, v2, v1, vcc_lo
	v_add_co_u32 v0, vcc_lo, v8, s2
	v_add_co_ci_u32_e32 v1, vcc_lo, s3, v9, vcc_lo
	v_and_or_b32 v4, 0x8000, v3, v2
	v_add_co_u32 v2, vcc_lo, v0, s2
	v_add_co_ci_u32_e32 v3, vcc_lo, s3, v1, vcc_lo
	v_lshl_or_b32 v10, v4, 16, v5
	v_add_co_u32 v4, vcc_lo, v2, s2
	v_add_co_ci_u32_e32 v5, vcc_lo, s3, v3, vcc_lo
	global_store_dword v[6:7], v15, off
	global_store_dword v[8:9], v18, off
	;; [unrolled: 1-line block ×5, first 2 shown]
.LBB0_10:
	s_endpgm
	.section	.rodata,"a",@progbits
	.p2align	6, 0x0
	.amdhsa_kernel bluestein_single_fwd_len52_dim1_half_op_CI_CI
		.amdhsa_group_segment_fixed_size 3328
		.amdhsa_private_segment_fixed_size 0
		.amdhsa_kernarg_size 104
		.amdhsa_user_sgpr_count 6
		.amdhsa_user_sgpr_private_segment_buffer 1
		.amdhsa_user_sgpr_dispatch_ptr 0
		.amdhsa_user_sgpr_queue_ptr 0
		.amdhsa_user_sgpr_kernarg_segment_ptr 1
		.amdhsa_user_sgpr_dispatch_id 0
		.amdhsa_user_sgpr_flat_scratch_init 0
		.amdhsa_user_sgpr_private_segment_size 0
		.amdhsa_wavefront_size32 1
		.amdhsa_uses_dynamic_stack 0
		.amdhsa_system_sgpr_private_segment_wavefront_offset 0
		.amdhsa_system_sgpr_workgroup_id_x 1
		.amdhsa_system_sgpr_workgroup_id_y 0
		.amdhsa_system_sgpr_workgroup_id_z 0
		.amdhsa_system_sgpr_workgroup_info 0
		.amdhsa_system_vgpr_workitem_id 0
		.amdhsa_next_free_vgpr 177
		.amdhsa_next_free_sgpr 20
		.amdhsa_reserve_vcc 1
		.amdhsa_reserve_flat_scratch 0
		.amdhsa_float_round_mode_32 0
		.amdhsa_float_round_mode_16_64 0
		.amdhsa_float_denorm_mode_32 3
		.amdhsa_float_denorm_mode_16_64 3
		.amdhsa_dx10_clamp 1
		.amdhsa_ieee_mode 1
		.amdhsa_fp16_overflow 0
		.amdhsa_workgroup_processor_mode 1
		.amdhsa_memory_ordered 1
		.amdhsa_forward_progress 0
		.amdhsa_shared_vgpr_count 0
		.amdhsa_exception_fp_ieee_invalid_op 0
		.amdhsa_exception_fp_denorm_src 0
		.amdhsa_exception_fp_ieee_div_zero 0
		.amdhsa_exception_fp_ieee_overflow 0
		.amdhsa_exception_fp_ieee_underflow 0
		.amdhsa_exception_fp_ieee_inexact 0
		.amdhsa_exception_int_div_zero 0
	.end_amdhsa_kernel
	.text
.Lfunc_end0:
	.size	bluestein_single_fwd_len52_dim1_half_op_CI_CI, .Lfunc_end0-bluestein_single_fwd_len52_dim1_half_op_CI_CI
                                        ; -- End function
	.section	.AMDGPU.csdata,"",@progbits
; Kernel info:
; codeLenInByte = 17812
; NumSgprs: 22
; NumVgprs: 177
; ScratchSize: 0
; MemoryBound: 0
; FloatMode: 240
; IeeeMode: 1
; LDSByteSize: 3328 bytes/workgroup (compile time only)
; SGPRBlocks: 2
; VGPRBlocks: 22
; NumSGPRsForWavesPerEU: 22
; NumVGPRsForWavesPerEU: 177
; Occupancy: 5
; WaveLimiterHint : 1
; COMPUTE_PGM_RSRC2:SCRATCH_EN: 0
; COMPUTE_PGM_RSRC2:USER_SGPR: 6
; COMPUTE_PGM_RSRC2:TRAP_HANDLER: 0
; COMPUTE_PGM_RSRC2:TGID_X_EN: 1
; COMPUTE_PGM_RSRC2:TGID_Y_EN: 0
; COMPUTE_PGM_RSRC2:TGID_Z_EN: 0
; COMPUTE_PGM_RSRC2:TIDIG_COMP_CNT: 0
	.text
	.p2alignl 6, 3214868480
	.fill 48, 4, 3214868480
	.type	__hip_cuid_386c0563db01ea44,@object ; @__hip_cuid_386c0563db01ea44
	.section	.bss,"aw",@nobits
	.globl	__hip_cuid_386c0563db01ea44
__hip_cuid_386c0563db01ea44:
	.byte	0                               ; 0x0
	.size	__hip_cuid_386c0563db01ea44, 1

	.ident	"AMD clang version 19.0.0git (https://github.com/RadeonOpenCompute/llvm-project roc-6.4.0 25133 c7fe45cf4b819c5991fe208aaa96edf142730f1d)"
	.section	".note.GNU-stack","",@progbits
	.addrsig
	.addrsig_sym __hip_cuid_386c0563db01ea44
	.amdgpu_metadata
---
amdhsa.kernels:
  - .args:
      - .actual_access:  read_only
        .address_space:  global
        .offset:         0
        .size:           8
        .value_kind:     global_buffer
      - .actual_access:  read_only
        .address_space:  global
        .offset:         8
        .size:           8
        .value_kind:     global_buffer
      - .actual_access:  read_only
        .address_space:  global
        .offset:         16
        .size:           8
        .value_kind:     global_buffer
      - .actual_access:  read_only
        .address_space:  global
        .offset:         24
        .size:           8
        .value_kind:     global_buffer
      - .actual_access:  read_only
        .address_space:  global
        .offset:         32
        .size:           8
        .value_kind:     global_buffer
      - .offset:         40
        .size:           8
        .value_kind:     by_value
      - .address_space:  global
        .offset:         48
        .size:           8
        .value_kind:     global_buffer
      - .address_space:  global
        .offset:         56
        .size:           8
        .value_kind:     global_buffer
      - .address_space:  global
        .offset:         64
        .size:           8
        .value_kind:     global_buffer
      - .address_space:  global
        .offset:         72
        .size:           8
        .value_kind:     global_buffer
      - .offset:         80
        .size:           4
        .value_kind:     by_value
      - .address_space:  global
        .offset:         88
        .size:           8
        .value_kind:     global_buffer
      - .address_space:  global
        .offset:         96
        .size:           8
        .value_kind:     global_buffer
    .group_segment_fixed_size: 3328
    .kernarg_segment_align: 8
    .kernarg_segment_size: 104
    .language:       OpenCL C
    .language_version:
      - 2
      - 0
    .max_flat_workgroup_size: 64
    .name:           bluestein_single_fwd_len52_dim1_half_op_CI_CI
    .private_segment_fixed_size: 0
    .sgpr_count:     22
    .sgpr_spill_count: 0
    .symbol:         bluestein_single_fwd_len52_dim1_half_op_CI_CI.kd
    .uniform_work_group_size: 1
    .uses_dynamic_stack: false
    .vgpr_count:     177
    .vgpr_spill_count: 0
    .wavefront_size: 32
    .workgroup_processor_mode: 1
amdhsa.target:   amdgcn-amd-amdhsa--gfx1030
amdhsa.version:
  - 1
  - 2
...

	.end_amdgpu_metadata
